;; amdgpu-corpus repo=ROCm/rocFFT kind=compiled arch=gfx1100 opt=O3
	.text
	.amdgcn_target "amdgcn-amd-amdhsa--gfx1100"
	.amdhsa_code_object_version 6
	.protected	bluestein_single_fwd_len945_dim1_dp_op_CI_CI ; -- Begin function bluestein_single_fwd_len945_dim1_dp_op_CI_CI
	.globl	bluestein_single_fwd_len945_dim1_dp_op_CI_CI
	.p2align	8
	.type	bluestein_single_fwd_len945_dim1_dp_op_CI_CI,@function
bluestein_single_fwd_len945_dim1_dp_op_CI_CI: ; @bluestein_single_fwd_len945_dim1_dp_op_CI_CI
; %bb.0:
	s_load_b128 s[16:19], s[0:1], 0x28
	v_mul_u32_u24_e32 v1, 0x411, v0
	s_mov_b32 s2, exec_lo
	v_mov_b32_e32 v7, 0
	s_delay_alu instid0(VALU_DEP_2) | instskip(NEXT) | instid1(VALU_DEP_1)
	v_lshrrev_b32_e32 v1, 16, v1
	v_add_nc_u32_e32 v6, s15, v1
	s_waitcnt lgkmcnt(0)
	s_delay_alu instid0(VALU_DEP_1)
	v_cmpx_gt_u64_e64 s[16:17], v[6:7]
	s_cbranch_execz .LBB0_10
; %bb.1:
	s_clause 0x1
	s_load_b128 s[4:7], s[0:1], 0x18
	s_load_b128 s[8:11], s[0:1], 0x0
	v_mul_lo_u16 v1, v1, 63
	s_mov_b32 s16, 0x134454ff
	s_mov_b32 s17, 0x3fee6f0e
	v_mov_b32_e32 v4, v6
	s_delay_alu instid0(VALU_DEP_2) | instskip(SKIP_2) | instid1(VALU_DEP_1)
	v_sub_nc_u16 v38, v0, v1
	scratch_store_b64 off, v[4:5], off offset:20 ; 8-byte Folded Spill
	v_and_b32_e32 v89, 0xffff, v38
	v_lshlrev_b32_e32 v99, 4, v89
	s_waitcnt lgkmcnt(0)
	s_load_b128 s[12:15], s[4:5], 0x0
	s_delay_alu instid0(VALU_DEP_1) | instskip(NEXT) | instid1(VALU_DEP_1)
	v_add_co_u32 v51, s2, s8, v99
	v_add_co_ci_u32_e64 v52, null, s9, 0, s2
	global_load_b128 v[18:21], v99, s[8:9]
	s_waitcnt lgkmcnt(0)
	v_mad_u64_u32 v[0:1], null, s14, v6, 0
	v_mad_u64_u32 v[2:3], null, s12, v89, 0
	s_mul_hi_u32 s4, s12, 0x13b0
	s_mul_i32 s3, s12, 0x13b0
	s_mul_i32 s5, s13, 0xffffdc90
	s_delay_alu instid0(VALU_DEP_1) | instskip(SKIP_1) | instid1(VALU_DEP_1)
	v_mad_u64_u32 v[4:5], null, s15, v6, v[1:2]
	s_mov_b32 s15, 0xbfee6f0e
	v_mad_u64_u32 v[5:6], null, s13, v89, v[3:4]
	v_mov_b32_e32 v1, v4
	s_delay_alu instid0(VALU_DEP_1) | instskip(NEXT) | instid1(VALU_DEP_3)
	v_lshlrev_b64 v[0:1], 4, v[0:1]
	v_mov_b32_e32 v3, v5
	s_delay_alu instid0(VALU_DEP_2) | instskip(NEXT) | instid1(VALU_DEP_2)
	v_add_co_u32 v0, vcc_lo, s18, v0
	v_lshlrev_b64 v[2:3], 4, v[2:3]
	s_delay_alu instid0(VALU_DEP_4) | instskip(SKIP_2) | instid1(VALU_DEP_4)
	v_add_co_ci_u32_e32 v1, vcc_lo, s19, v1, vcc_lo
	v_add_co_u32 v36, vcc_lo, 0x1000, v51
	v_add_co_ci_u32_e32 v37, vcc_lo, 0, v52, vcc_lo
	v_add_co_u32 v4, s2, v0, v2
	s_delay_alu instid0(VALU_DEP_1) | instskip(SKIP_1) | instid1(VALU_DEP_2)
	v_add_co_ci_u32_e64 v5, s2, v1, v3, s2
	s_mul_i32 s2, s13, 0x13b0
	v_add_co_u32 v8, vcc_lo, v4, s3
	global_load_b128 v[0:3], v[4:5], off
	s_add_i32 s2, s4, s2
	s_mul_hi_u32 s4, s12, 0xffffdc90
	v_add_co_ci_u32_e32 v9, vcc_lo, s2, v5, vcc_lo
	global_load_b128 v[22:25], v[36:37], off offset:944
	global_load_b128 v[4:7], v[8:9], off
	v_add_co_u32 v55, vcc_lo, 0x2000, v51
	v_add_co_ci_u32_e32 v56, vcc_lo, 0, v52, vcc_lo
	s_sub_i32 s4, s4, s12
	s_mulk_i32 s12, 0xdc90
	s_add_i32 s4, s4, s5
	s_mov_b32 s13, 0xbfebb67a
	s_mov_b32 s18, 0x372fe950
	;; [unrolled: 1-line block ×3, first 2 shown]
	s_waitcnt vmcnt(3)
	scratch_store_b128 off, v[18:21], off offset:28 ; 16-byte Folded Spill
	s_waitcnt vmcnt(2)
	v_mul_f64 v[12:13], v[0:1], v[20:21]
	v_mul_f64 v[10:11], v[2:3], v[20:21]
	s_waitcnt vmcnt(1)
	scratch_store_b128 off, v[22:25], off offset:44 ; 16-byte Folded Spill
	s_waitcnt vmcnt(0)
	v_mul_f64 v[16:17], v[4:5], v[24:25]
	v_mul_f64 v[14:15], v[6:7], v[24:25]
	v_fma_f64 v[2:3], v[2:3], v[18:19], -v[12:13]
	v_add_co_u32 v12, vcc_lo, v8, s3
	v_add_co_ci_u32_e32 v13, vcc_lo, s2, v9, vcc_lo
	v_fma_f64 v[0:1], v[0:1], v[18:19], v[10:11]
	global_load_b128 v[18:21], v[55:56], off offset:1888
	global_load_b128 v[8:11], v[12:13], off
	v_fma_f64 v[6:7], v[6:7], v[22:23], -v[16:17]
	v_fma_f64 v[4:5], v[4:5], v[22:23], v[14:15]
	s_waitcnt vmcnt(1)
	scratch_store_b128 off, v[18:21], off offset:172 ; 16-byte Folded Spill
	s_waitcnt vmcnt(0)
	v_mul_f64 v[16:17], v[8:9], v[20:21]
	v_mul_f64 v[14:15], v[10:11], v[20:21]
	s_delay_alu instid0(VALU_DEP_2) | instskip(SKIP_2) | instid1(VALU_DEP_4)
	v_fma_f64 v[10:11], v[10:11], v[18:19], -v[16:17]
	v_add_co_u32 v16, vcc_lo, v12, s12
	v_add_co_ci_u32_e32 v17, vcc_lo, s4, v13, vcc_lo
	v_fma_f64 v[8:9], v[8:9], v[18:19], v[14:15]
	global_load_b128 v[22:25], v99, s[8:9] offset:1008
	global_load_b128 v[12:15], v[16:17], off
	s_waitcnt vmcnt(1)
	scratch_store_b128 off, v[22:25], off offset:204 ; 16-byte Folded Spill
	s_waitcnt vmcnt(0)
	v_mul_f64 v[20:21], v[12:13], v[24:25]
	v_mul_f64 v[18:19], v[14:15], v[24:25]
	s_delay_alu instid0(VALU_DEP_2) | instskip(SKIP_2) | instid1(VALU_DEP_4)
	v_fma_f64 v[14:15], v[14:15], v[22:23], -v[20:21]
	v_add_co_u32 v20, vcc_lo, v16, s3
	v_add_co_ci_u32_e32 v21, vcc_lo, s2, v17, vcc_lo
	v_fma_f64 v[12:13], v[12:13], v[22:23], v[18:19]
	global_load_b128 v[26:29], v[36:37], off offset:1952
	global_load_b128 v[16:19], v[20:21], off
	s_waitcnt vmcnt(1)
	scratch_store_b128 off, v[26:29], off offset:60 ; 16-byte Folded Spill
	s_waitcnt vmcnt(0)
	v_mul_f64 v[24:25], v[16:17], v[28:29]
	v_mul_f64 v[22:23], v[18:19], v[28:29]
	s_delay_alu instid0(VALU_DEP_2) | instskip(SKIP_2) | instid1(VALU_DEP_4)
	v_fma_f64 v[18:19], v[18:19], v[26:27], -v[24:25]
	v_add_co_u32 v24, vcc_lo, v20, s3
	v_add_co_ci_u32_e32 v25, vcc_lo, s2, v21, vcc_lo
	v_fma_f64 v[16:17], v[16:17], v[26:27], v[22:23]
	global_load_b128 v[30:33], v[55:56], off offset:2896
	global_load_b128 v[20:23], v[24:25], off
	s_waitcnt vmcnt(1)
	scratch_store_b128 off, v[30:33], off offset:76 ; 16-byte Folded Spill
	s_waitcnt vmcnt(0)
	v_mul_f64 v[28:29], v[20:21], v[32:33]
	v_mul_f64 v[26:27], v[22:23], v[32:33]
	s_delay_alu instid0(VALU_DEP_2) | instskip(SKIP_2) | instid1(VALU_DEP_4)
	v_fma_f64 v[22:23], v[22:23], v[30:31], -v[28:29]
	v_add_co_u32 v28, vcc_lo, v24, s12
	v_add_co_ci_u32_e32 v29, vcc_lo, s4, v25, vcc_lo
	v_fma_f64 v[20:21], v[20:21], v[30:31], v[26:27]
	global_load_b128 v[39:42], v99, s[8:9] offset:2016
	global_load_b128 v[24:27], v[28:29], off
	s_waitcnt vmcnt(1)
	scratch_store_b128 off, v[39:42], off offset:92 ; 16-byte Folded Spill
	s_waitcnt vmcnt(0)
	v_mul_f64 v[32:33], v[24:25], v[41:42]
	v_mul_f64 v[30:31], v[26:27], v[41:42]
	s_delay_alu instid0(VALU_DEP_2) | instskip(SKIP_2) | instid1(VALU_DEP_4)
	v_fma_f64 v[26:27], v[26:27], v[39:40], -v[32:33]
	v_add_co_u32 v32, vcc_lo, v28, s3
	v_add_co_ci_u32_e32 v33, vcc_lo, s2, v29, vcc_lo
	v_fma_f64 v[24:25], v[24:25], v[39:40], v[30:31]
	global_load_b128 v[41:44], v[36:37], off offset:2960
	global_load_b128 v[28:31], v[32:33], off
	s_waitcnt vmcnt(1)
	scratch_store_b128 off, v[41:44], off offset:108 ; 16-byte Folded Spill
	s_waitcnt vmcnt(0)
	v_mul_f64 v[39:40], v[28:29], v[43:44]
	v_mul_f64 v[34:35], v[30:31], v[43:44]
	s_delay_alu instid0(VALU_DEP_2) | instskip(SKIP_2) | instid1(VALU_DEP_4)
	v_fma_f64 v[30:31], v[30:31], v[41:42], -v[39:40]
	v_add_co_u32 v39, vcc_lo, v32, s3
	v_add_co_ci_u32_e32 v40, vcc_lo, s2, v33, vcc_lo
	v_fma_f64 v[28:29], v[28:29], v[41:42], v[34:35]
	global_load_b128 v[45:48], v[55:56], off offset:3904
	global_load_b128 v[32:35], v[39:40], off
	s_waitcnt vmcnt(1)
	scratch_store_b128 off, v[45:48], off offset:124 ; 16-byte Folded Spill
	s_waitcnt vmcnt(0)
	v_mul_f64 v[43:44], v[32:33], v[47:48]
	v_mul_f64 v[41:42], v[34:35], v[47:48]
	s_delay_alu instid0(VALU_DEP_2) | instskip(SKIP_2) | instid1(VALU_DEP_4)
	v_fma_f64 v[34:35], v[34:35], v[45:46], -v[43:44]
	v_add_co_u32 v43, vcc_lo, v39, s12
	v_add_co_ci_u32_e32 v44, vcc_lo, s4, v40, vcc_lo
	v_fma_f64 v[32:33], v[32:33], v[45:46], v[41:42]
	global_load_b128 v[57:60], v99, s[8:9] offset:3024
	global_load_b128 v[39:42], v[43:44], off
	s_waitcnt vmcnt(1)
	scratch_store_b128 off, v[57:60], off offset:140 ; 16-byte Folded Spill
	s_waitcnt vmcnt(0)
	v_mul_f64 v[47:48], v[39:40], v[59:60]
	v_mul_f64 v[45:46], v[41:42], v[59:60]
	s_delay_alu instid0(VALU_DEP_2) | instskip(SKIP_2) | instid1(VALU_DEP_4)
	v_fma_f64 v[41:42], v[41:42], v[57:58], -v[47:48]
	v_add_co_u32 v47, vcc_lo, v43, s3
	v_add_co_ci_u32_e32 v48, vcc_lo, s2, v44, vcc_lo
	v_fma_f64 v[39:40], v[39:40], v[57:58], v[45:46]
	global_load_b128 v[57:60], v[36:37], off offset:3968
	global_load_b128 v[43:46], v[47:48], off
	s_waitcnt vmcnt(1)
	scratch_store_b128 off, v[57:60], off offset:156 ; 16-byte Folded Spill
	s_waitcnt vmcnt(0)
	v_mul_f64 v[36:37], v[45:46], v[59:60]
	v_mul_f64 v[49:50], v[43:44], v[59:60]
	s_delay_alu instid0(VALU_DEP_2)
	v_fma_f64 v[43:44], v[43:44], v[57:58], v[36:37]
	v_add_co_u32 v36, vcc_lo, v47, s3
	v_add_co_ci_u32_e32 v37, vcc_lo, s2, v48, vcc_lo
	v_add_co_u32 v59, vcc_lo, 0x3000, v51
	v_add_co_ci_u32_e32 v60, vcc_lo, 0, v52, vcc_lo
	v_fma_f64 v[45:46], v[45:46], v[57:58], -v[49:50]
	global_load_b128 v[61:64], v[59:60], off offset:816
	global_load_b128 v[47:50], v[36:37], off
	v_add_co_u32 v36, vcc_lo, v36, s12
	v_add_co_ci_u32_e32 v37, vcc_lo, s4, v37, vcc_lo
	s_waitcnt vmcnt(1)
	scratch_store_b128 off, v[61:64], off offset:188 ; 16-byte Folded Spill
	s_waitcnt vmcnt(0)
	v_mul_f64 v[51:52], v[49:50], v[63:64]
	v_mul_f64 v[53:54], v[47:48], v[63:64]
	s_delay_alu instid0(VALU_DEP_2) | instskip(NEXT) | instid1(VALU_DEP_2)
	v_fma_f64 v[47:48], v[47:48], v[61:62], v[51:52]
	v_fma_f64 v[49:50], v[49:50], v[61:62], -v[53:54]
	global_load_b128 v[63:66], v99, s[8:9] offset:4032
	global_load_b128 v[51:54], v[36:37], off
	v_add_co_u32 v36, vcc_lo, v36, s3
	v_add_co_ci_u32_e32 v37, vcc_lo, s2, v37, vcc_lo
	s_waitcnt vmcnt(1)
	scratch_store_b128 off, v[63:66], off offset:220 ; 16-byte Folded Spill
	s_waitcnt vmcnt(0)
	v_mul_f64 v[57:58], v[53:54], v[65:66]
	v_mul_f64 v[61:62], v[51:52], v[65:66]
	s_delay_alu instid0(VALU_DEP_2)
	v_fma_f64 v[51:52], v[51:52], v[63:64], v[57:58]
	global_load_b128 v[65:68], v[55:56], off offset:880
	global_load_b128 v[55:58], v[36:37], off
	v_fma_f64 v[53:54], v[53:54], v[63:64], -v[61:62]
	v_add_co_u32 v36, vcc_lo, v36, s3
	v_add_co_ci_u32_e32 v37, vcc_lo, s2, v37, vcc_lo
	s_mov_b32 s2, 0xe8584caa
	s_mov_b32 s3, 0x3febb67a
	;; [unrolled: 1-line block ×3, first 2 shown]
	v_cmp_gt_u16_e32 vcc_lo, 9, v38
	s_waitcnt vmcnt(1)
	scratch_store_b128 off, v[65:68], off offset:236 ; 16-byte Folded Spill
	s_waitcnt vmcnt(0)
	v_mul_f64 v[61:62], v[57:58], v[67:68]
	v_mul_f64 v[63:64], v[55:56], v[67:68]
	s_delay_alu instid0(VALU_DEP_2) | instskip(NEXT) | instid1(VALU_DEP_2)
	v_fma_f64 v[55:56], v[55:56], v[65:66], v[61:62]
	v_fma_f64 v[57:58], v[57:58], v[65:66], -v[63:64]
	global_load_b128 v[65:68], v[59:60], off offset:1824
	global_load_b128 v[59:62], v[36:37], off
	s_waitcnt vmcnt(1)
	scratch_store_b128 off, v[65:68], off offset:252 ; 16-byte Folded Spill
	s_waitcnt vmcnt(0)
	v_mul_f64 v[36:37], v[61:62], v[67:68]
	v_mul_f64 v[63:64], v[59:60], v[67:68]
	s_delay_alu instid0(VALU_DEP_2) | instskip(NEXT) | instid1(VALU_DEP_2)
	v_fma_f64 v[59:60], v[59:60], v[65:66], v[36:37]
	v_fma_f64 v[61:62], v[61:62], v[65:66], -v[63:64]
	ds_store_b128 v99, v[0:3]
	ds_store_b128 v99, v[4:7] offset:5040
	ds_store_b128 v99, v[8:11] offset:10080
	;; [unrolled: 1-line block ×14, first 2 shown]
	s_load_b128 s[4:7], s[6:7], 0x0
	s_waitcnt lgkmcnt(0)
	s_waitcnt_vscnt null, 0x0
	s_barrier
	buffer_gl0_inv
	ds_load_b128 v[0:3], v99 offset:5040
	ds_load_b128 v[4:7], v99
	ds_load_b128 v[8:11], v99 offset:10080
	s_waitcnt lgkmcnt(1)
	v_add_f64 v[12:13], v[4:5], v[0:1]
	v_add_f64 v[14:15], v[6:7], v[2:3]
	s_waitcnt lgkmcnt(0)
	v_add_f64 v[36:37], v[0:1], v[8:9]
	v_add_f64 v[47:48], v[2:3], v[10:11]
	v_add_f64 v[49:50], v[2:3], -v[10:11]
	v_add_f64 v[51:52], v[0:1], -v[8:9]
	v_add_f64 v[0:1], v[12:13], v[8:9]
	v_add_f64 v[2:3], v[14:15], v[10:11]
	ds_load_b128 v[8:11], v99 offset:6048
	ds_load_b128 v[12:15], v99 offset:1008
	;; [unrolled: 1-line block ×3, first 2 shown]
	v_fma_f64 v[36:37], v[36:37], -0.5, v[4:5]
	s_waitcnt lgkmcnt(1)
	v_add_f64 v[20:21], v[12:13], v[8:9]
	v_add_f64 v[22:23], v[14:15], v[10:11]
	s_waitcnt lgkmcnt(0)
	v_add_f64 v[53:54], v[8:9], v[16:17]
	v_add_f64 v[55:56], v[10:11], v[18:19]
	v_add_f64 v[57:58], v[10:11], -v[18:19]
	v_add_f64 v[59:60], v[8:9], -v[16:17]
	v_fma_f64 v[4:5], v[49:50], s[2:3], v[36:37]
	v_add_f64 v[8:9], v[20:21], v[16:17]
	v_add_f64 v[10:11], v[22:23], v[18:19]
	ds_load_b128 v[16:19], v99 offset:7056
	ds_load_b128 v[20:23], v99 offset:2016
	;; [unrolled: 1-line block ×3, first 2 shown]
	s_waitcnt lgkmcnt(1)
	v_add_f64 v[28:29], v[20:21], v[16:17]
	v_add_f64 v[30:31], v[22:23], v[18:19]
	s_waitcnt lgkmcnt(0)
	v_add_f64 v[61:62], v[16:17], v[24:25]
	v_add_f64 v[63:64], v[18:19], v[26:27]
	v_add_f64 v[65:66], v[18:19], -v[26:27]
	v_add_f64 v[67:68], v[16:17], -v[24:25]
	v_add_f64 v[16:17], v[28:29], v[24:25]
	v_add_f64 v[18:19], v[30:31], v[26:27]
	ds_load_b128 v[24:27], v99 offset:8064
	ds_load_b128 v[28:31], v99 offset:3024
	;; [unrolled: 1-line block ×3, first 2 shown]
	s_waitcnt lgkmcnt(1)
	v_add_f64 v[39:40], v[28:29], v[24:25]
	v_add_f64 v[41:42], v[30:31], v[26:27]
	s_waitcnt lgkmcnt(0)
	v_add_f64 v[69:70], v[24:25], v[32:33]
	v_add_f64 v[71:72], v[26:27], v[34:35]
	v_add_f64 v[73:74], v[26:27], -v[34:35]
	v_add_f64 v[75:76], v[24:25], -v[32:33]
	v_add_f64 v[24:25], v[39:40], v[32:33]
	v_add_f64 v[26:27], v[41:42], v[34:35]
	ds_load_b128 v[32:35], v99 offset:9072
	ds_load_b128 v[39:42], v99 offset:4032
	ds_load_b128 v[43:46], v99 offset:14112
	s_waitcnt lgkmcnt(0)
	s_barrier
	buffer_gl0_inv
	v_add_f64 v[77:78], v[39:40], v[32:33]
	v_add_f64 v[79:80], v[41:42], v[34:35]
	;; [unrolled: 1-line block ×3, first 2 shown]
	v_add_f64 v[87:88], v[32:33], -v[43:44]
	v_add_f64 v[83:84], v[34:35], v[45:46]
	v_add_f64 v[85:86], v[34:35], -v[45:46]
	v_add_f64 v[32:33], v[77:78], v[43:44]
	v_fma_f64 v[43:44], v[47:48], -0.5, v[6:7]
	v_add_f64 v[34:35], v[79:80], v[45:46]
	v_fma_f64 v[45:46], v[53:54], -0.5, v[12:13]
	v_fma_f64 v[47:48], v[55:56], -0.5, v[14:15]
	v_fma_f64 v[53:54], v[61:62], -0.5, v[20:21]
	v_fma_f64 v[55:56], v[63:64], -0.5, v[22:23]
	v_fma_f64 v[61:62], v[69:70], -0.5, v[28:29]
	v_fma_f64 v[63:64], v[71:72], -0.5, v[30:31]
	v_fma_f64 v[69:70], v[81:82], -0.5, v[39:40]
	v_fma_f64 v[71:72], v[83:84], -0.5, v[41:42]
	v_fma_f64 v[12:13], v[49:50], s[12:13], v[36:37]
	v_mul_lo_u16 v36, v38, 3
	v_add_co_u32 v39, null, v89, 63
	v_add_co_u32 v84, null, 0x7e, v89
	s_delay_alu instid0(VALU_DEP_3) | instskip(NEXT) | instid1(VALU_DEP_1)
	v_and_b32_e32 v36, 0xffff, v36
	v_lshlrev_b32_e32 v36, 4, v36
	v_fma_f64 v[6:7], v[51:52], s[12:13], v[43:44]
	v_fma_f64 v[14:15], v[51:52], s[2:3], v[43:44]
	;; [unrolled: 1-line block ×14, first 2 shown]
	ds_store_b128 v36, v[0:3]
	ds_store_b128 v36, v[4:7] offset:16
	v_mul_u32_u24_e32 v0, 3, v39
	v_fma_f64 v[60:61], v[85:86], s[12:13], v[69:70]
	v_fma_f64 v[62:63], v[87:88], s[2:3], v[71:72]
	;; [unrolled: 1-line block ×4, first 2 shown]
	v_lshlrev_b32_e32 v0, 4, v0
	scratch_store_b32 off, v36, off offset:432 ; 4-byte Folded Spill
	ds_store_b128 v36, v[12:15] offset:32
	ds_store_b128 v0, v[8:11]
	ds_store_b128 v0, v[20:23] offset:16
	scratch_store_b32 off, v0, off offset:436 ; 4-byte Folded Spill
	ds_store_b128 v0, v[28:31] offset:32
	v_mul_u32_u24_e32 v0, 3, v84
	s_delay_alu instid0(VALU_DEP_1)
	v_lshlrev_b32_e32 v0, 4, v0
	ds_store_b128 v0, v[16:19]
	ds_store_b128 v0, v[40:43] offset:16
	ds_store_b128 v0, v[44:47] offset:32
	v_add_co_u32 v44, null, 0xbd, v89
	scratch_store_b32 off, v0, off offset:428 ; 4-byte Folded Spill
	v_add_co_u32 v43, null, 0xfc, v89
	v_mul_u32_u24_e32 v0, 3, v44
	v_and_b32_e32 v42, 0xff, v38
	v_and_b32_e32 v41, 0xff, v39
	;; [unrolled: 1-line block ×4, first 2 shown]
	v_lshlrev_b32_e32 v0, 4, v0
	ds_store_b128 v0, v[24:27]
	ds_store_b128 v0, v[48:51] offset:16
	s_clause 0x1
	scratch_store_b32 off, v0, off offset:424
	scratch_store_b32 off, v89, off
	ds_store_b128 v0, v[52:55] offset:32
	v_mul_u32_u24_e32 v0, 3, v43
	v_and_b32_e32 v46, 0xffff, v43
	s_delay_alu instid0(VALU_DEP_2)
	v_lshlrev_b32_e32 v0, 4, v0
	ds_store_b128 v0, v[32:35]
	ds_store_b128 v0, v[56:59] offset:16
	scratch_store_b32 off, v0, off offset:420 ; 4-byte Folded Spill
	ds_store_b128 v0, v[60:63] offset:32
	v_mul_lo_u16 v0, 0xab, v42
	s_waitcnt lgkmcnt(0)
	s_waitcnt_vscnt null, 0x0
	s_barrier
	buffer_gl0_inv
	ds_load_b128 v[4:7], v99 offset:5040
	ds_load_b128 v[85:88], v99 offset:4032
	v_lshrrev_b16 v50, 9, v0
	ds_load_b128 v[10:13], v99 offset:11088
	ds_load_b128 v[22:25], v99 offset:12096
	ds_load_b128 v[30:33], v99 offset:13104
	ds_load_b128 v[57:60], v99 offset:14112
	v_mul_lo_u16 v0, v50, 3
	ds_load_b128 v[69:72], v99 offset:1008
	ds_load_b128 v[77:80], v99 offset:3024
	v_sub_nc_u16 v0, v38, v0
	s_delay_alu instid0(VALU_DEP_1) | instskip(NEXT) | instid1(VALU_DEP_1)
	v_and_b32_e32 v47, 0xff, v0
	v_lshlrev_b32_e32 v8, 5, v47
	s_clause 0x1
	global_load_b128 v[132:135], v8, s[10:11]
	global_load_b128 v[136:139], v8, s[10:11] offset:16
	s_waitcnt vmcnt(1) lgkmcnt(7)
	v_mul_f64 v[0:1], v[6:7], v[134:135]
	s_delay_alu instid0(VALU_DEP_1) | instskip(SKIP_1) | instid1(VALU_DEP_1)
	v_fma_f64 v[2:3], v[4:5], v[132:133], -v[0:1]
	v_mul_f64 v[0:1], v[4:5], v[134:135]
	v_fma_f64 v[61:62], v[6:7], v[132:133], v[0:1]
	ds_load_b128 v[4:7], v99 offset:10080
	s_waitcnt vmcnt(0) lgkmcnt(0)
	v_mul_f64 v[0:1], v[6:7], v[138:139]
	s_delay_alu instid0(VALU_DEP_1) | instskip(SKIP_1) | instid1(VALU_DEP_2)
	v_fma_f64 v[14:15], v[4:5], v[136:137], -v[0:1]
	v_mul_f64 v[0:1], v[4:5], v[138:139]
	v_add_f64 v[63:64], v[2:3], v[14:15]
	s_delay_alu instid0(VALU_DEP_2) | instskip(SKIP_3) | instid1(VALU_DEP_1)
	v_fma_f64 v[20:21], v[6:7], v[136:137], v[0:1]
	v_mul_lo_u16 v0, 0xab, v41
	ds_load_b128 v[4:7], v99 offset:6048
	v_lshrrev_b16 v48, 9, v0
	v_mul_lo_u16 v0, v48, 3
	s_delay_alu instid0(VALU_DEP_1) | instskip(NEXT) | instid1(VALU_DEP_1)
	v_sub_nc_u16 v0, v39, v0
	v_and_b32_e32 v49, 0xff, v0
	s_delay_alu instid0(VALU_DEP_1)
	v_lshlrev_b32_e32 v8, 5, v49
	s_clause 0x1
	global_load_b128 v[148:151], v8, s[10:11]
	global_load_b128 v[144:147], v8, s[10:11] offset:16
	v_add_f64 v[65:66], v[61:62], v[20:21]
	s_waitcnt vmcnt(1) lgkmcnt(0)
	v_mul_f64 v[0:1], v[6:7], v[150:151]
	s_delay_alu instid0(VALU_DEP_1) | instskip(SKIP_1) | instid1(VALU_DEP_1)
	v_fma_f64 v[0:1], v[4:5], v[148:149], -v[0:1]
	v_mul_f64 v[4:5], v[4:5], v[150:151]
	v_fma_f64 v[6:7], v[6:7], v[148:149], v[4:5]
	s_waitcnt vmcnt(0)
	v_mul_f64 v[4:5], v[12:13], v[146:147]
	s_delay_alu instid0(VALU_DEP_1) | instskip(SKIP_1) | instid1(VALU_DEP_1)
	v_fma_f64 v[8:9], v[10:11], v[144:145], -v[4:5]
	v_mul_f64 v[4:5], v[10:11], v[146:147]
	v_fma_f64 v[16:17], v[12:13], v[144:145], v[4:5]
	v_mul_lo_u16 v4, 0xab, v40
	ds_load_b128 v[10:13], v99 offset:7056
	v_lshrrev_b16 v51, 9, v4
	s_delay_alu instid0(VALU_DEP_1) | instskip(NEXT) | instid1(VALU_DEP_1)
	v_mul_lo_u16 v4, v51, 3
	v_sub_nc_u16 v4, v84, v4
	s_delay_alu instid0(VALU_DEP_1) | instskip(NEXT) | instid1(VALU_DEP_1)
	v_and_b32_e32 v52, 0xff, v4
	v_lshlrev_b32_e32 v18, 5, v52
	s_clause 0x1
	global_load_b128 v[156:159], v18, s[10:11]
	global_load_b128 v[152:155], v18, s[10:11] offset:16
	s_waitcnt vmcnt(1) lgkmcnt(0)
	v_mul_f64 v[4:5], v[12:13], v[158:159]
	s_delay_alu instid0(VALU_DEP_1) | instskip(SKIP_1) | instid1(VALU_DEP_1)
	v_fma_f64 v[4:5], v[10:11], v[156:157], -v[4:5]
	v_mul_f64 v[10:11], v[10:11], v[158:159]
	v_fma_f64 v[12:13], v[12:13], v[156:157], v[10:11]
	s_waitcnt vmcnt(0)
	v_mul_f64 v[10:11], v[24:25], v[154:155]
	s_delay_alu instid0(VALU_DEP_1) | instskip(SKIP_1) | instid1(VALU_DEP_1)
	v_fma_f64 v[18:19], v[22:23], v[152:153], -v[10:11]
	v_mul_f64 v[10:11], v[22:23], v[154:155]
	v_fma_f64 v[22:23], v[24:25], v[152:153], v[10:11]
	v_mul_lo_u16 v10, 0xab, v45
	ds_load_b128 v[24:27], v99 offset:8064
	v_lshrrev_b16 v53, 9, v10
	s_delay_alu instid0(VALU_DEP_1) | instskip(NEXT) | instid1(VALU_DEP_1)
	v_mul_lo_u16 v10, v53, 3
	v_sub_nc_u16 v10, v44, v10
	s_delay_alu instid0(VALU_DEP_1) | instskip(NEXT) | instid1(VALU_DEP_1)
	v_and_b32_e32 v54, 0xff, v10
	v_lshlrev_b32_e32 v28, 5, v54
	s_clause 0x1
	global_load_b128 v[164:167], v28, s[10:11]
	global_load_b128 v[160:163], v28, s[10:11] offset:16
	s_waitcnt vmcnt(1) lgkmcnt(0)
	v_mul_f64 v[10:11], v[26:27], v[166:167]
	s_delay_alu instid0(VALU_DEP_1) | instskip(SKIP_1) | instid1(VALU_DEP_1)
	v_fma_f64 v[10:11], v[24:25], v[164:165], -v[10:11]
	v_mul_f64 v[24:25], v[24:25], v[166:167]
	v_fma_f64 v[24:25], v[26:27], v[164:165], v[24:25]
	s_waitcnt vmcnt(0)
	v_mul_f64 v[26:27], v[32:33], v[162:163]
	s_delay_alu instid0(VALU_DEP_1) | instskip(SKIP_1) | instid1(VALU_DEP_1)
	v_fma_f64 v[28:29], v[30:31], v[160:161], -v[26:27]
	v_mul_f64 v[26:27], v[30:31], v[162:163]
	v_fma_f64 v[30:31], v[32:33], v[160:161], v[26:27]
	v_mul_u32_u24_e32 v26, 0xaaab, v46
	ds_load_b128 v[32:35], v99 offset:9072
	v_lshrrev_b32_e32 v55, 17, v26
	s_delay_alu instid0(VALU_DEP_1) | instskip(NEXT) | instid1(VALU_DEP_1)
	v_mul_lo_u16 v26, v55, 3
	v_sub_nc_u16 v56, v43, v26
	s_delay_alu instid0(VALU_DEP_1) | instskip(NEXT) | instid1(VALU_DEP_1)
	v_lshlrev_b16 v26, 1, v56
	v_and_b32_e32 v26, 0xffff, v26
	s_delay_alu instid0(VALU_DEP_1)
	v_lshlrev_b32_e32 v36, 4, v26
	s_clause 0x1
	global_load_b128 v[168:171], v36, s[10:11]
	global_load_b128 v[140:143], v36, s[10:11] offset:16
	s_waitcnt vmcnt(1) lgkmcnt(0)
	v_mul_f64 v[26:27], v[34:35], v[170:171]
	s_waitcnt vmcnt(0)
	v_mul_f64 v[36:37], v[57:58], v[142:143]
	s_delay_alu instid0(VALU_DEP_2) | instskip(SKIP_1) | instid1(VALU_DEP_3)
	v_fma_f64 v[26:27], v[32:33], v[168:169], -v[26:27]
	v_mul_f64 v[32:33], v[32:33], v[170:171]
	v_fma_f64 v[36:37], v[59:60], v[140:141], v[36:37]
	s_delay_alu instid0(VALU_DEP_3) | instskip(NEXT) | instid1(VALU_DEP_3)
	v_add_f64 v[81:82], v[85:86], v[26:27]
	v_fma_f64 v[32:33], v[34:35], v[168:169], v[32:33]
	v_mul_f64 v[34:35], v[59:60], v[142:143]
	s_delay_alu instid0(VALU_DEP_1)
	v_fma_f64 v[34:35], v[57:58], v[140:141], -v[34:35]
	ds_load_b128 v[57:60], v99
	s_waitcnt lgkmcnt(0)
	v_fma_f64 v[63:64], v[63:64], -0.5, v[57:58]
	v_fma_f64 v[67:68], v[65:66], -0.5, v[59:60]
	v_add_f64 v[57:58], v[57:58], v[2:3]
	v_add_f64 v[65:66], v[61:62], -v[20:21]
	v_add_f64 v[2:3], v[2:3], -v[14:15]
	v_add_f64 v[59:60], v[59:60], v[61:62]
	s_delay_alu instid0(VALU_DEP_4) | instskip(NEXT) | instid1(VALU_DEP_4)
	v_add_f64 v[57:58], v[57:58], v[14:15]
	v_fma_f64 v[61:62], v[65:66], s[2:3], v[63:64]
	v_fma_f64 v[65:66], v[65:66], s[12:13], v[63:64]
	;; [unrolled: 1-line block ×4, first 2 shown]
	v_add_f64 v[2:3], v[0:1], v[8:9]
	v_add_f64 v[14:15], v[6:7], v[16:17]
	v_add_f64 v[59:60], v[59:60], v[20:21]
	s_delay_alu instid0(VALU_DEP_3) | instskip(NEXT) | instid1(VALU_DEP_3)
	v_fma_f64 v[2:3], v[2:3], -0.5, v[69:70]
	v_fma_f64 v[20:21], v[14:15], -0.5, v[71:72]
	v_add_f64 v[14:15], v[71:72], v[6:7]
	v_add_f64 v[69:70], v[69:70], v[0:1]
	v_add_f64 v[6:7], v[6:7], -v[16:17]
	s_delay_alu instid0(VALU_DEP_3) | instskip(NEXT) | instid1(VALU_DEP_3)
	v_add_f64 v[16:17], v[14:15], v[16:17]
	v_add_f64 v[14:15], v[69:70], v[8:9]
	v_add_f64 v[8:9], v[0:1], -v[8:9]
	s_delay_alu instid0(VALU_DEP_4)
	v_fma_f64 v[0:1], v[6:7], s[2:3], v[2:3]
	v_fma_f64 v[6:7], v[6:7], s[12:13], v[2:3]
	ds_load_b128 v[69:72], v99 offset:2016
	s_waitcnt lgkmcnt(0)
	s_barrier
	buffer_gl0_inv
	v_fma_f64 v[2:3], v[8:9], s[12:13], v[20:21]
	v_fma_f64 v[8:9], v[8:9], s[2:3], v[20:21]
	v_add_f64 v[20:21], v[4:5], v[18:19]
	s_delay_alu instid0(VALU_DEP_1) | instskip(SKIP_3) | instid1(VALU_DEP_3)
	v_fma_f64 v[73:74], v[20:21], -0.5, v[69:70]
	v_add_f64 v[20:21], v[12:13], v[22:23]
	v_add_f64 v[69:70], v[69:70], v[4:5]
	v_add_f64 v[4:5], v[4:5], -v[18:19]
	v_fma_f64 v[75:76], v[20:21], -0.5, v[71:72]
	v_add_f64 v[20:21], v[71:72], v[12:13]
	v_add_f64 v[12:13], v[12:13], -v[22:23]
	s_delay_alu instid0(VALU_DEP_3) | instskip(NEXT) | instid1(VALU_DEP_3)
	v_fma_f64 v[71:72], v[4:5], s[12:13], v[75:76]
	v_add_f64 v[22:23], v[20:21], v[22:23]
	v_add_f64 v[20:21], v[69:70], v[18:19]
	s_delay_alu instid0(VALU_DEP_4) | instskip(SKIP_4) | instid1(VALU_DEP_3)
	v_fma_f64 v[69:70], v[12:13], s[2:3], v[73:74]
	v_fma_f64 v[73:74], v[12:13], s[12:13], v[73:74]
	v_add_f64 v[12:13], v[24:25], v[30:31]
	v_fma_f64 v[75:76], v[4:5], s[2:3], v[75:76]
	v_add_f64 v[4:5], v[10:11], v[28:29]
	v_fma_f64 v[18:19], v[12:13], -0.5, v[79:80]
	v_add_f64 v[12:13], v[79:80], v[24:25]
	s_delay_alu instid0(VALU_DEP_3) | instskip(SKIP_2) | instid1(VALU_DEP_4)
	v_fma_f64 v[4:5], v[4:5], -0.5, v[77:78]
	v_add_f64 v[77:78], v[77:78], v[10:11]
	v_add_f64 v[24:25], v[24:25], -v[30:31]
	v_add_f64 v[79:80], v[12:13], v[30:31]
	v_add_f64 v[30:31], v[10:11], -v[28:29]
	s_delay_alu instid0(VALU_DEP_4) | instskip(NEXT) | instid1(VALU_DEP_4)
	v_add_f64 v[77:78], v[77:78], v[28:29]
	v_fma_f64 v[10:11], v[24:25], s[2:3], v[4:5]
	v_fma_f64 v[28:29], v[24:25], s[12:13], v[4:5]
	v_add_f64 v[4:5], v[26:27], v[34:35]
	v_add_f64 v[24:25], v[87:88], v[32:33]
	v_fma_f64 v[12:13], v[30:31], s[12:13], v[18:19]
	v_fma_f64 v[30:31], v[30:31], s[2:3], v[18:19]
	v_add_f64 v[18:19], v[32:33], v[36:37]
	v_add_f64 v[32:33], v[32:33], -v[36:37]
	v_fma_f64 v[4:5], v[4:5], -0.5, v[85:86]
	v_add_f64 v[85:86], v[81:82], v[34:35]
	v_add_f64 v[34:35], v[26:27], -v[34:35]
	v_fma_f64 v[18:19], v[18:19], -0.5, v[87:88]
	v_add_f64 v[87:88], v[24:25], v[36:37]
	v_fma_f64 v[24:25], v[32:33], s[2:3], v[4:5]
	v_fma_f64 v[32:33], v[32:33], s[12:13], v[4:5]
	v_and_b32_e32 v4, 0xffff, v50
	s_delay_alu instid0(VALU_DEP_1) | instskip(NEXT) | instid1(VALU_DEP_1)
	v_mul_u32_u24_e32 v4, 9, v4
	v_add_lshl_u32 v4, v4, v47, 4
	ds_store_b128 v4, v[57:60]
	ds_store_b128 v4, v[61:64] offset:48
	scratch_store_b32 off, v4, off offset:476 ; 4-byte Folded Spill
	ds_store_b128 v4, v[65:68] offset:96
	v_and_b32_e32 v4, 0xffff, v48
	s_delay_alu instid0(VALU_DEP_1) | instskip(NEXT) | instid1(VALU_DEP_1)
	v_mul_u32_u24_e32 v4, 9, v4
	v_add_lshl_u32 v4, v4, v49, 4
	ds_store_b128 v4, v[14:17]
	ds_store_b128 v4, v[0:3] offset:48
	v_and_b32_e32 v0, 0xffff, v51
	v_fma_f64 v[26:27], v[34:35], s[12:13], v[18:19]
	v_fma_f64 v[34:35], v[34:35], s[2:3], v[18:19]
	scratch_store_b32 off, v4, off offset:468 ; 4-byte Folded Spill
	ds_store_b128 v4, v[6:9] offset:96
	v_mul_u32_u24_e32 v0, 9, v0
	s_delay_alu instid0(VALU_DEP_1)
	v_add_lshl_u32 v0, v0, v52, 4
	ds_store_b128 v0, v[20:23]
	ds_store_b128 v0, v[69:72] offset:48
	scratch_store_b32 off, v0, off offset:460 ; 4-byte Folded Spill
	ds_store_b128 v0, v[73:76] offset:96
	v_and_b32_e32 v0, 0xffff, v53
	s_delay_alu instid0(VALU_DEP_1) | instskip(NEXT) | instid1(VALU_DEP_1)
	v_mul_u32_u24_e32 v0, 9, v0
	v_add_lshl_u32 v0, v0, v54, 4
	ds_store_b128 v0, v[77:80]
	ds_store_b128 v0, v[10:13] offset:48
	scratch_store_b32 off, v0, off offset:452 ; 4-byte Folded Spill
	ds_store_b128 v0, v[28:31] offset:96
	v_mad_u16 v0, v55, 9, v56
	s_delay_alu instid0(VALU_DEP_1) | instskip(NEXT) | instid1(VALU_DEP_1)
	v_and_b32_e32 v0, 0xffff, v0
	v_lshlrev_b32_e32 v0, 4, v0
	ds_store_b128 v0, v[85:88]
	ds_store_b128 v0, v[24:27] offset:48
	scratch_store_b32 off, v0, off offset:444 ; 4-byte Folded Spill
	ds_store_b128 v0, v[32:35] offset:96
	v_mul_lo_u16 v0, v42, 57
	s_waitcnt lgkmcnt(0)
	s_waitcnt_vscnt null, 0x0
	s_barrier
	buffer_gl0_inv
	ds_load_b128 v[2:5], v99 offset:5040
	v_lshrrev_b16 v1, 9, v0
	s_delay_alu instid0(VALU_DEP_1) | instskip(SKIP_1) | instid1(VALU_DEP_2)
	v_mul_lo_u16 v0, v1, 9
	v_mul_lo_u16 v1, v1, 27
	v_sub_nc_u16 v0, v38, v0
	s_delay_alu instid0(VALU_DEP_2) | instskip(NEXT) | instid1(VALU_DEP_2)
	v_and_b32_e32 v1, 0xff, v1
	v_and_b32_e32 v0, 0xff, v0
	s_delay_alu instid0(VALU_DEP_1) | instskip(NEXT) | instid1(VALU_DEP_3)
	v_lshlrev_b32_e32 v8, 5, v0
	v_add_lshl_u32 v0, v1, v0, 4
	s_clause 0x1
	global_load_b128 v[172:175], v8, s[10:11] offset:96
	global_load_b128 v[184:187], v8, s[10:11] offset:112
	s_waitcnt vmcnt(1) lgkmcnt(0)
	v_mul_f64 v[6:7], v[4:5], v[174:175]
	s_delay_alu instid0(VALU_DEP_1) | instskip(SKIP_1) | instid1(VALU_DEP_1)
	v_fma_f64 v[14:15], v[2:3], v[172:173], -v[6:7]
	v_mul_f64 v[2:3], v[2:3], v[174:175]
	v_fma_f64 v[16:17], v[4:5], v[172:173], v[2:3]
	ds_load_b128 v[2:5], v99 offset:10080
	s_waitcnt vmcnt(0) lgkmcnt(0)
	v_mul_f64 v[6:7], v[4:5], v[186:187]
	s_delay_alu instid0(VALU_DEP_1) | instskip(SKIP_1) | instid1(VALU_DEP_1)
	v_fma_f64 v[18:19], v[2:3], v[184:185], -v[6:7]
	v_mul_f64 v[2:3], v[2:3], v[186:187]
	v_fma_f64 v[20:21], v[4:5], v[184:185], v[2:3]
	v_mul_lo_u16 v2, v41, 57
	ds_load_b128 v[4:7], v99 offset:6048
	v_lshrrev_b16 v2, 9, v2
	s_delay_alu instid0(VALU_DEP_1) | instskip(NEXT) | instid1(VALU_DEP_1)
	v_mul_lo_u16 v3, v2, 9
	v_sub_nc_u16 v3, v39, v3
	s_delay_alu instid0(VALU_DEP_1) | instskip(NEXT) | instid1(VALU_DEP_1)
	v_and_b32_e32 v3, 0xff, v3
	v_lshlrev_b32_e32 v10, 5, v3
	s_clause 0x1
	global_load_b128 v[192:195], v10, s[10:11] offset:96
	global_load_b128 v[188:191], v10, s[10:11] offset:112
	s_waitcnt vmcnt(1) lgkmcnt(0)
	v_mul_f64 v[8:9], v[6:7], v[194:195]
	s_delay_alu instid0(VALU_DEP_1) | instskip(SKIP_1) | instid1(VALU_DEP_1)
	v_fma_f64 v[26:27], v[4:5], v[192:193], -v[8:9]
	v_mul_f64 v[4:5], v[4:5], v[194:195]
	v_fma_f64 v[28:29], v[6:7], v[192:193], v[4:5]
	ds_load_b128 v[4:7], v99 offset:11088
	s_waitcnt vmcnt(0) lgkmcnt(0)
	v_mul_f64 v[8:9], v[6:7], v[190:191]
	s_delay_alu instid0(VALU_DEP_1) | instskip(SKIP_1) | instid1(VALU_DEP_2)
	v_fma_f64 v[30:31], v[4:5], v[188:189], -v[8:9]
	v_mul_f64 v[4:5], v[4:5], v[190:191]
	v_add_f64 v[34:35], v[26:27], v[30:31]
	s_delay_alu instid0(VALU_DEP_2) | instskip(SKIP_3) | instid1(VALU_DEP_1)
	v_fma_f64 v[32:33], v[6:7], v[188:189], v[4:5]
	v_mul_lo_u16 v4, v40, 57
	ds_load_b128 v[6:9], v99 offset:7056
	v_lshrrev_b16 v4, 9, v4
	v_mul_lo_u16 v5, v4, 9
	s_delay_alu instid0(VALU_DEP_1) | instskip(NEXT) | instid1(VALU_DEP_1)
	v_sub_nc_u16 v5, v84, v5
	v_and_b32_e32 v5, 0xff, v5
	s_delay_alu instid0(VALU_DEP_1)
	v_lshlrev_b32_e32 v12, 5, v5
	s_clause 0x1
	global_load_b128 v[200:203], v12, s[10:11] offset:96
	global_load_b128 v[196:199], v12, s[10:11] offset:112
	v_add_f64 v[36:37], v[28:29], v[32:33]
	s_waitcnt vmcnt(1) lgkmcnt(0)
	v_mul_f64 v[10:11], v[8:9], v[202:203]
	s_delay_alu instid0(VALU_DEP_1) | instskip(SKIP_1) | instid1(VALU_DEP_1)
	v_fma_f64 v[47:48], v[6:7], v[200:201], -v[10:11]
	v_mul_f64 v[6:7], v[6:7], v[202:203]
	v_fma_f64 v[49:50], v[8:9], v[200:201], v[6:7]
	ds_load_b128 v[6:9], v99 offset:12096
	s_waitcnt vmcnt(0) lgkmcnt(0)
	v_mul_f64 v[10:11], v[8:9], v[198:199]
	s_delay_alu instid0(VALU_DEP_1) | instskip(SKIP_1) | instid1(VALU_DEP_1)
	v_fma_f64 v[51:52], v[6:7], v[196:197], -v[10:11]
	v_mul_f64 v[6:7], v[6:7], v[198:199]
	v_fma_f64 v[53:54], v[8:9], v[196:197], v[6:7]
	v_mul_lo_u16 v6, v45, 57
	ds_load_b128 v[8:11], v99 offset:8064
	v_lshrrev_b16 v6, 9, v6
	s_delay_alu instid0(VALU_DEP_1) | instskip(NEXT) | instid1(VALU_DEP_1)
	v_mul_lo_u16 v7, v6, 9
	v_sub_nc_u16 v7, v44, v7
	s_delay_alu instid0(VALU_DEP_1) | instskip(NEXT) | instid1(VALU_DEP_1)
	v_and_b32_e32 v7, 0xff, v7
	v_lshlrev_b32_e32 v22, 5, v7
	s_clause 0x1
	global_load_b128 v[212:215], v22, s[10:11] offset:96
	global_load_b128 v[204:207], v22, s[10:11] offset:112
	s_waitcnt vmcnt(1) lgkmcnt(0)
	v_mul_f64 v[12:13], v[10:11], v[214:215]
	s_delay_alu instid0(VALU_DEP_1) | instskip(SKIP_1) | instid1(VALU_DEP_1)
	v_fma_f64 v[55:56], v[8:9], v[212:213], -v[12:13]
	v_mul_f64 v[8:9], v[8:9], v[214:215]
	v_fma_f64 v[57:58], v[10:11], v[212:213], v[8:9]
	ds_load_b128 v[8:11], v99 offset:13104
	s_waitcnt vmcnt(0) lgkmcnt(0)
	v_mul_f64 v[12:13], v[10:11], v[206:207]
	s_delay_alu instid0(VALU_DEP_1) | instskip(SKIP_1) | instid1(VALU_DEP_1)
	v_fma_f64 v[59:60], v[8:9], v[204:205], -v[12:13]
	v_mul_f64 v[8:9], v[8:9], v[206:207]
	v_fma_f64 v[61:62], v[10:11], v[204:205], v[8:9]
	v_mul_u32_u24_e32 v8, 0xe38f, v46
	s_delay_alu instid0(VALU_DEP_1) | instskip(NEXT) | instid1(VALU_DEP_1)
	v_lshrrev_b32_e32 v8, 19, v8
	v_mul_lo_u16 v9, v8, 9
	s_delay_alu instid0(VALU_DEP_1) | instskip(SKIP_1) | instid1(VALU_DEP_2)
	v_sub_nc_u16 v9, v43, v9
	v_add_f64 v[43:44], v[47:48], v[51:52]
	v_lshlrev_b16 v10, 5, v9
	s_delay_alu instid0(VALU_DEP_1) | instskip(NEXT) | instid1(VALU_DEP_1)
	v_and_b32_e32 v10, 0xffff, v10
	v_add_co_u32 v22, s14, s10, v10
	s_delay_alu instid0(VALU_DEP_1)
	v_add_co_ci_u32_e64 v23, null, s11, 0, s14
	ds_load_b128 v[10:13], v99 offset:9072
	s_mov_b32 s14, s16
	s_clause 0x1
	global_load_b128 v[216:219], v[22:23], off offset:96
	global_load_b128 v[180:183], v[22:23], off offset:112
	v_add_f64 v[65:66], v[57:58], v[61:62]
	s_waitcnt vmcnt(1) lgkmcnt(0)
	v_mul_f64 v[24:25], v[12:13], v[218:219]
	s_delay_alu instid0(VALU_DEP_1) | instskip(SKIP_2) | instid1(VALU_DEP_2)
	v_fma_f64 v[67:68], v[10:11], v[216:217], -v[24:25]
	v_mul_f64 v[10:11], v[10:11], v[218:219]
	v_add_f64 v[24:25], v[16:17], v[20:21]
	v_fma_f64 v[69:70], v[12:13], v[216:217], v[10:11]
	ds_load_b128 v[10:13], v99 offset:14112
	s_waitcnt vmcnt(0) lgkmcnt(0)
	v_mul_f64 v[22:23], v[12:13], v[182:183]
	s_delay_alu instid0(VALU_DEP_1) | instskip(SKIP_2) | instid1(VALU_DEP_3)
	v_fma_f64 v[71:72], v[10:11], v[180:181], -v[22:23]
	v_mul_f64 v[10:11], v[10:11], v[182:183]
	v_add_f64 v[22:23], v[14:15], v[18:19]
	v_add_f64 v[75:76], v[67:68], v[71:72]
	s_delay_alu instid0(VALU_DEP_3)
	v_fma_f64 v[73:74], v[12:13], v[180:181], v[10:11]
	ds_load_b128 v[10:13], v99
	s_waitcnt lgkmcnt(0)
	v_fma_f64 v[24:25], v[24:25], -0.5, v[12:13]
	v_add_f64 v[12:13], v[12:13], v[16:17]
	v_fma_f64 v[22:23], v[22:23], -0.5, v[10:11]
	v_add_f64 v[10:11], v[10:11], v[14:15]
	v_add_f64 v[16:17], v[16:17], -v[20:21]
	v_add_f64 v[77:78], v[69:70], v[73:74]
	v_add_f64 v[12:13], v[12:13], v[20:21]
	v_add_f64 v[20:21], v[14:15], -v[18:19]
	v_add_f64 v[10:11], v[10:11], v[18:19]
	v_fma_f64 v[14:15], v[16:17], s[2:3], v[22:23]
	v_fma_f64 v[18:19], v[16:17], s[12:13], v[22:23]
	s_delay_alu instid0(VALU_DEP_4)
	v_fma_f64 v[16:17], v[20:21], s[12:13], v[24:25]
	v_fma_f64 v[20:21], v[20:21], s[2:3], v[24:25]
	ds_load_b128 v[22:25], v99 offset:1008
	s_waitcnt lgkmcnt(0)
	v_fma_f64 v[36:37], v[36:37], -0.5, v[24:25]
	v_add_f64 v[24:25], v[24:25], v[28:29]
	v_fma_f64 v[34:35], v[34:35], -0.5, v[22:23]
	v_add_f64 v[22:23], v[22:23], v[26:27]
	v_add_f64 v[28:29], v[28:29], -v[32:33]
	s_delay_alu instid0(VALU_DEP_4) | instskip(SKIP_1) | instid1(VALU_DEP_4)
	v_add_f64 v[24:25], v[24:25], v[32:33]
	v_add_f64 v[32:33], v[26:27], -v[30:31]
	v_add_f64 v[22:23], v[22:23], v[30:31]
	s_delay_alu instid0(VALU_DEP_4) | instskip(SKIP_1) | instid1(VALU_DEP_4)
	v_fma_f64 v[26:27], v[28:29], s[2:3], v[34:35]
	v_fma_f64 v[30:31], v[28:29], s[12:13], v[34:35]
	;; [unrolled: 1-line block ×4, first 2 shown]
	ds_load_b128 v[34:37], v99 offset:2016
	s_waitcnt lgkmcnt(0)
	v_fma_f64 v[45:46], v[43:44], -0.5, v[34:35]
	v_add_f64 v[43:44], v[49:50], v[53:54]
	v_add_f64 v[34:35], v[34:35], v[47:48]
	s_delay_alu instid0(VALU_DEP_2) | instskip(SKIP_2) | instid1(VALU_DEP_4)
	v_fma_f64 v[63:64], v[43:44], -0.5, v[36:37]
	v_add_f64 v[36:37], v[36:37], v[49:50]
	v_add_f64 v[49:50], v[49:50], -v[53:54]
	v_add_f64 v[34:35], v[34:35], v[51:52]
	v_add_f64 v[51:52], v[47:48], -v[51:52]
	s_delay_alu instid0(VALU_DEP_4) | instskip(NEXT) | instid1(VALU_DEP_4)
	v_add_f64 v[36:37], v[36:37], v[53:54]
	v_fma_f64 v[43:44], v[49:50], s[2:3], v[45:46]
	v_fma_f64 v[47:48], v[49:50], s[12:13], v[45:46]
	s_delay_alu instid0(VALU_DEP_4)
	v_fma_f64 v[45:46], v[51:52], s[12:13], v[63:64]
	v_fma_f64 v[49:50], v[51:52], s[2:3], v[63:64]
	ds_load_b128 v[51:54], v99 offset:3024
	v_add_f64 v[63:64], v[55:56], v[59:60]
	s_waitcnt lgkmcnt(0)
	v_fma_f64 v[65:66], v[65:66], -0.5, v[53:54]
	v_add_f64 v[53:54], v[53:54], v[57:58]
	v_add_f64 v[57:58], v[57:58], -v[61:62]
	s_delay_alu instid0(VALU_DEP_4) | instskip(SKIP_1) | instid1(VALU_DEP_4)
	v_fma_f64 v[63:64], v[63:64], -0.5, v[51:52]
	v_add_f64 v[51:52], v[51:52], v[55:56]
	v_add_f64 v[53:54], v[53:54], v[61:62]
	v_add_f64 v[61:62], v[55:56], -v[59:60]
	s_delay_alu instid0(VALU_DEP_4) | instskip(NEXT) | instid1(VALU_DEP_4)
	v_fma_f64 v[55:56], v[57:58], s[2:3], v[63:64]
	v_add_f64 v[51:52], v[51:52], v[59:60]
	v_fma_f64 v[59:60], v[57:58], s[12:13], v[63:64]
	s_delay_alu instid0(VALU_DEP_4)
	v_fma_f64 v[57:58], v[61:62], s[12:13], v[65:66]
	v_fma_f64 v[61:62], v[61:62], s[2:3], v[65:66]
	ds_load_b128 v[63:66], v99 offset:4032
	s_waitcnt lgkmcnt(0)
	s_barrier
	buffer_gl0_inv
	ds_store_b128 v0, v[10:13]
	ds_store_b128 v0, v[14:17] offset:144
	scratch_store_b32 off, v0, off offset:472 ; 4-byte Folded Spill
	ds_store_b128 v0, v[18:21] offset:288
	v_and_b32_e32 v0, 0xffff, v2
	s_delay_alu instid0(VALU_DEP_1) | instskip(NEXT) | instid1(VALU_DEP_1)
	v_mul_u32_u24_e32 v0, 27, v0
	v_add_lshl_u32 v0, v0, v3, 4
	ds_store_b128 v0, v[22:25]
	ds_store_b128 v0, v[26:29] offset:144
	v_fma_f64 v[77:78], v[77:78], -0.5, v[65:66]
	v_add_f64 v[65:66], v[65:66], v[69:70]
	v_fma_f64 v[75:76], v[75:76], -0.5, v[63:64]
	v_add_f64 v[63:64], v[63:64], v[67:68]
	v_add_f64 v[69:70], v[69:70], -v[73:74]
	scratch_store_b32 off, v0, off offset:464 ; 4-byte Folded Spill
	ds_store_b128 v0, v[30:33] offset:288
	v_and_b32_e32 v0, 0xffff, v4
	s_delay_alu instid0(VALU_DEP_1) | instskip(NEXT) | instid1(VALU_DEP_1)
	v_mul_u32_u24_e32 v0, 27, v0
	v_add_lshl_u32 v0, v0, v5, 4
	ds_store_b128 v0, v[34:37]
	ds_store_b128 v0, v[43:46] offset:144
	scratch_store_b32 off, v0, off offset:456 ; 4-byte Folded Spill
	ds_store_b128 v0, v[47:50] offset:288
	v_and_b32_e32 v0, 0xffff, v6
	s_delay_alu instid0(VALU_DEP_1) | instskip(NEXT) | instid1(VALU_DEP_1)
	v_mul_u32_u24_e32 v0, 27, v0
	v_add_lshl_u32 v0, v0, v7, 4
	ds_store_b128 v0, v[51:54]
	ds_store_b128 v0, v[55:58] offset:144
	v_add_f64 v[65:66], v[65:66], v[73:74]
	v_add_f64 v[73:74], v[67:68], -v[71:72]
	v_add_f64 v[63:64], v[63:64], v[71:72]
	v_fma_f64 v[67:68], v[69:70], s[2:3], v[75:76]
	v_fma_f64 v[71:72], v[69:70], s[12:13], v[75:76]
	scratch_store_b32 off, v0, off offset:448 ; 4-byte Folded Spill
	ds_store_b128 v0, v[59:62] offset:288
	v_mad_u16 v0, v8, 27, v9
	s_delay_alu instid0(VALU_DEP_1) | instskip(NEXT) | instid1(VALU_DEP_1)
	v_and_b32_e32 v0, 0xffff, v0
	v_lshlrev_b32_e32 v0, 4, v0
	v_fma_f64 v[69:70], v[73:74], s[12:13], v[77:78]
	v_fma_f64 v[73:74], v[73:74], s[2:3], v[77:78]
	ds_store_b128 v0, v[63:66]
	ds_store_b128 v0, v[67:70] offset:144
	scratch_store_b32 off, v0, off offset:440 ; 4-byte Folded Spill
	ds_store_b128 v0, v[71:74] offset:288
	v_mul_lo_u16 v0, v42, 19
	s_waitcnt lgkmcnt(0)
	s_waitcnt_vscnt null, 0x0
	s_barrier
	buffer_gl0_inv
	s_mov_b32 s2, 0x4755a5e
	v_lshrrev_b16 v8, 9, v0
	s_mov_b32 s3, 0x3fe2cf23
	s_mov_b32 s13, 0xbfe2cf23
	;; [unrolled: 1-line block ×3, first 2 shown]
	s_delay_alu instid0(VALU_DEP_1) | instskip(SKIP_1) | instid1(VALU_DEP_2)
	v_mul_lo_u16 v0, v8, 27
	v_and_b32_e32 v8, 0xffff, v8
	v_sub_nc_u16 v0, v38, v0
	s_delay_alu instid0(VALU_DEP_2) | instskip(NEXT) | instid1(VALU_DEP_2)
	v_mul_u32_u24_e32 v8, 0x87, v8
	v_and_b32_e32 v9, 0xff, v0
	ds_load_b128 v[0:3], v99 offset:3024
	v_lshlrev_b32_e32 v6, 6, v9
	v_add_lshl_u32 v98, v8, v9, 4
	s_clause 0x3
	global_load_b128 v[176:179], v6, s[10:11] offset:384
	global_load_b128 v[208:211], v6, s[10:11] offset:400
	;; [unrolled: 1-line block ×4, first 2 shown]
	s_waitcnt vmcnt(3) lgkmcnt(0)
	v_mul_f64 v[4:5], v[2:3], v[178:179]
	s_delay_alu instid0(VALU_DEP_1) | instskip(SKIP_1) | instid1(VALU_DEP_1)
	v_fma_f64 v[22:23], v[0:1], v[176:177], -v[4:5]
	v_mul_f64 v[0:1], v[0:1], v[178:179]
	v_fma_f64 v[24:25], v[2:3], v[176:177], v[0:1]
	ds_load_b128 v[0:3], v99 offset:6048
	s_waitcnt vmcnt(2) lgkmcnt(0)
	v_mul_f64 v[4:5], v[2:3], v[210:211]
	s_delay_alu instid0(VALU_DEP_1) | instskip(SKIP_1) | instid1(VALU_DEP_2)
	v_fma_f64 v[26:27], v[0:1], v[208:209], -v[4:5]
	v_mul_f64 v[0:1], v[0:1], v[210:211]
	v_add_f64 v[85:86], v[26:27], -v[22:23]
	s_delay_alu instid0(VALU_DEP_2) | instskip(SKIP_3) | instid1(VALU_DEP_1)
	v_fma_f64 v[28:29], v[2:3], v[208:209], v[0:1]
	ds_load_b128 v[0:3], v99 offset:9072
	s_waitcnt vmcnt(1) lgkmcnt(0)
	v_mul_f64 v[4:5], v[2:3], v[226:227]
	v_fma_f64 v[30:31], v[0:1], v[224:225], -v[4:5]
	v_mul_f64 v[0:1], v[0:1], v[226:227]
	s_delay_alu instid0(VALU_DEP_2) | instskip(NEXT) | instid1(VALU_DEP_2)
	v_add_f64 v[81:82], v[26:27], -v[30:31]
	v_fma_f64 v[32:33], v[2:3], v[224:225], v[0:1]
	ds_load_b128 v[0:3], v99 offset:12096
	s_waitcnt vmcnt(0) lgkmcnt(0)
	v_mul_f64 v[4:5], v[2:3], v[222:223]
	v_add_f64 v[61:62], v[28:29], -v[32:33]
	s_delay_alu instid0(VALU_DEP_2) | instskip(SKIP_1) | instid1(VALU_DEP_2)
	v_fma_f64 v[34:35], v[0:1], v[220:221], -v[4:5]
	v_mul_f64 v[0:1], v[0:1], v[222:223]
	v_add_f64 v[79:80], v[22:23], -v[34:35]
	s_delay_alu instid0(VALU_DEP_2) | instskip(SKIP_1) | instid1(VALU_DEP_1)
	v_fma_f64 v[36:37], v[2:3], v[220:221], v[0:1]
	v_mul_lo_u16 v0, v41, 19
	v_lshrrev_b16 v10, 9, v0
	s_delay_alu instid0(VALU_DEP_1) | instskip(SKIP_1) | instid1(VALU_DEP_2)
	v_mul_lo_u16 v0, v10, 27
	v_and_b32_e32 v8, 0xffff, v10
	v_sub_nc_u16 v0, v39, v0
	s_delay_alu instid0(VALU_DEP_2) | instskip(NEXT) | instid1(VALU_DEP_2)
	v_mul_u32_u24_e32 v8, 0x87, v8
	v_and_b32_e32 v11, 0xff, v0
	ds_load_b128 v[0:3], v99 offset:4032
	v_lshlrev_b32_e32 v6, 6, v11
	v_add_lshl_u32 v8, v8, v11, 4
	s_clause 0x3
	global_load_b128 v[228:231], v6, s[10:11] offset:384
	global_load_b128 v[236:239], v6, s[10:11] offset:400
	;; [unrolled: 1-line block ×4, first 2 shown]
	v_add_f64 v[59:60], v[24:25], -v[36:37]
	s_waitcnt vmcnt(3) lgkmcnt(0)
	v_mul_f64 v[4:5], v[2:3], v[230:231]
	s_delay_alu instid0(VALU_DEP_1) | instskip(SKIP_1) | instid1(VALU_DEP_1)
	v_fma_f64 v[43:44], v[0:1], v[228:229], -v[4:5]
	v_mul_f64 v[0:1], v[0:1], v[230:231]
	v_fma_f64 v[45:46], v[2:3], v[228:229], v[0:1]
	ds_load_b128 v[0:3], v99 offset:7056
	s_waitcnt vmcnt(2) lgkmcnt(0)
	v_mul_f64 v[4:5], v[2:3], v[238:239]
	s_delay_alu instid0(VALU_DEP_1) | instskip(SKIP_1) | instid1(VALU_DEP_2)
	v_fma_f64 v[47:48], v[0:1], v[236:237], -v[4:5]
	v_mul_f64 v[0:1], v[0:1], v[238:239]
	v_add_f64 v[89:90], v[47:48], -v[43:44]
	s_delay_alu instid0(VALU_DEP_2) | instskip(SKIP_3) | instid1(VALU_DEP_1)
	v_fma_f64 v[49:50], v[2:3], v[236:237], v[0:1]
	ds_load_b128 v[0:3], v99 offset:10080
	s_waitcnt vmcnt(1) lgkmcnt(0)
	v_mul_f64 v[4:5], v[2:3], v[242:243]
	v_fma_f64 v[51:52], v[0:1], v[240:241], -v[4:5]
	v_mul_f64 v[0:1], v[0:1], v[242:243]
	s_delay_alu instid0(VALU_DEP_2) | instskip(NEXT) | instid1(VALU_DEP_2)
	v_add_f64 v[87:88], v[47:48], -v[51:52]
	v_fma_f64 v[53:54], v[2:3], v[240:241], v[0:1]
	ds_load_b128 v[0:3], v99 offset:13104
	s_waitcnt vmcnt(0) lgkmcnt(0)
	v_mul_f64 v[4:5], v[2:3], v[234:235]
	s_delay_alu instid0(VALU_DEP_1) | instskip(SKIP_1) | instid1(VALU_DEP_1)
	v_fma_f64 v[55:56], v[0:1], v[232:233], -v[4:5]
	v_mul_f64 v[0:1], v[0:1], v[234:235]
	v_fma_f64 v[57:58], v[2:3], v[232:233], v[0:1]
	v_mul_lo_u16 v0, v40, 19
	s_delay_alu instid0(VALU_DEP_1) | instskip(NEXT) | instid1(VALU_DEP_1)
	v_lshrrev_b16 v12, 9, v0
	v_mul_lo_u16 v0, v12, 27
	s_delay_alu instid0(VALU_DEP_1) | instskip(NEXT) | instid1(VALU_DEP_1)
	v_sub_nc_u16 v0, v84, v0
	v_and_b32_e32 v13, 0xff, v0
	ds_load_b128 v[0:3], v99 offset:5040
	v_lshlrev_b32_e32 v16, 6, v13
	s_clause 0x2
	global_load_b128 v[248:251], v16, s[10:11] offset:384
	global_load_b128 v[252:255], v16, s[10:11] offset:416
	global_load_b128 v[244:247], v16, s[10:11] offset:432
	s_waitcnt vmcnt(2) lgkmcnt(0)
	v_mul_f64 v[4:5], v[2:3], v[250:251]
	s_delay_alu instid0(VALU_DEP_1)
	v_fma_f64 v[63:64], v[0:1], v[248:249], -v[4:5]
	v_mul_f64 v[0:1], v[0:1], v[250:251]
	ds_load_b128 v[4:7], v99 offset:8064
	v_fma_f64 v[65:66], v[2:3], v[248:249], v[0:1]
	global_load_b128 v[0:3], v16, s[10:11] offset:400
	s_waitcnt vmcnt(0) lgkmcnt(0)
	v_mul_f64 v[14:15], v[6:7], v[2:3]
	s_delay_alu instid0(VALU_DEP_1) | instskip(SKIP_1) | instid1(VALU_DEP_1)
	v_fma_f64 v[67:68], v[4:5], v[0:1], -v[14:15]
	v_mul_f64 v[4:5], v[4:5], v[2:3]
	v_fma_f64 v[69:70], v[6:7], v[0:1], v[4:5]
	ds_load_b128 v[4:7], v99 offset:11088
	s_waitcnt lgkmcnt(0)
	v_mul_f64 v[14:15], v[6:7], v[254:255]
	s_delay_alu instid0(VALU_DEP_1) | instskip(SKIP_1) | instid1(VALU_DEP_2)
	v_fma_f64 v[71:72], v[4:5], v[252:253], -v[14:15]
	v_mul_f64 v[4:5], v[4:5], v[254:255]
	v_add_f64 v[91:92], v[67:68], -v[71:72]
	s_delay_alu instid0(VALU_DEP_2) | instskip(SKIP_3) | instid1(VALU_DEP_1)
	v_fma_f64 v[73:74], v[6:7], v[252:253], v[4:5]
	ds_load_b128 v[4:7], v99 offset:14112
	s_waitcnt lgkmcnt(0)
	v_mul_f64 v[14:15], v[6:7], v[246:247]
	v_fma_f64 v[75:76], v[4:5], v[244:245], -v[14:15]
	v_mul_f64 v[4:5], v[4:5], v[246:247]
	v_add_f64 v[14:15], v[26:27], v[30:31]
	s_delay_alu instid0(VALU_DEP_2) | instskip(SKIP_2) | instid1(VALU_DEP_1)
	v_fma_f64 v[77:78], v[6:7], v[244:245], v[4:5]
	v_add_f64 v[4:5], v[22:23], -v[26:27]
	v_add_f64 v[6:7], v[34:35], -v[30:31]
	v_add_f64 v[18:19], v[4:5], v[6:7]
	v_add_f64 v[4:5], v[24:25], -v[28:29]
	v_add_f64 v[6:7], v[36:37], -v[32:33]
	s_delay_alu instid0(VALU_DEP_1) | instskip(SKIP_4) | instid1(VALU_DEP_1)
	v_add_f64 v[20:21], v[4:5], v[6:7]
	ds_load_b128 v[4:7], v99
	s_waitcnt lgkmcnt(0)
	v_fma_f64 v[39:40], v[14:15], -0.5, v[4:5]
	v_add_f64 v[14:15], v[28:29], v[32:33]
	v_fma_f64 v[41:42], v[14:15], -0.5, v[6:7]
	s_delay_alu instid0(VALU_DEP_3) | instskip(SKIP_1) | instid1(VALU_DEP_3)
	v_fma_f64 v[14:15], v[59:60], s[16:17], v[39:40]
	v_fma_f64 v[39:40], v[59:60], s[14:15], v[39:40]
	;; [unrolled: 1-line block ×4, first 2 shown]
	s_delay_alu instid0(VALU_DEP_4) | instskip(NEXT) | instid1(VALU_DEP_4)
	v_fma_f64 v[14:15], v[61:62], s[2:3], v[14:15]
	v_fma_f64 v[39:40], v[61:62], s[12:13], v[39:40]
	s_delay_alu instid0(VALU_DEP_4) | instskip(NEXT) | instid1(VALU_DEP_4)
	v_fma_f64 v[16:17], v[81:82], s[12:13], v[16:17]
	v_fma_f64 v[41:42], v[81:82], s[2:3], v[41:42]
	;; [unrolled: 3-line block ×3, first 2 shown]
	v_add_f64 v[39:40], v[22:23], v[34:35]
	v_fma_f64 v[16:17], v[20:21], s[18:19], v[16:17]
	v_fma_f64 v[20:21], v[20:21], s[18:19], v[41:42]
	v_add_f64 v[41:42], v[24:25], v[36:37]
	s_delay_alu instid0(VALU_DEP_4) | instskip(SKIP_1) | instid1(VALU_DEP_3)
	v_fma_f64 v[39:40], v[39:40], -0.5, v[4:5]
	v_add_f64 v[4:5], v[4:5], v[22:23]
	v_fma_f64 v[41:42], v[41:42], -0.5, v[6:7]
	v_add_f64 v[6:7], v[6:7], v[24:25]
	s_delay_alu instid0(VALU_DEP_3) | instskip(SKIP_1) | instid1(VALU_DEP_3)
	v_add_f64 v[4:5], v[4:5], v[26:27]
	v_add_f64 v[26:27], v[28:29], -v[24:25]
	v_add_f64 v[6:7], v[6:7], v[28:29]
	v_add_f64 v[28:29], v[30:31], -v[34:35]
	s_delay_alu instid0(VALU_DEP_4) | instskip(SKIP_1) | instid1(VALU_DEP_4)
	v_add_f64 v[4:5], v[4:5], v[30:31]
	v_fma_f64 v[30:31], v[61:62], s[16:17], v[39:40]
	v_add_f64 v[6:7], v[6:7], v[32:33]
	s_delay_alu instid0(VALU_DEP_3)
	v_add_f64 v[22:23], v[4:5], v[34:35]
	v_add_f64 v[4:5], v[32:33], -v[36:37]
	v_fma_f64 v[32:33], v[81:82], s[16:17], v[41:42]
	v_fma_f64 v[34:35], v[81:82], s[14:15], v[41:42]
	;; [unrolled: 1-line block ×3, first 2 shown]
	v_add_f64 v[81:82], v[49:50], -v[53:54]
	v_add_f64 v[24:25], v[6:7], v[36:37]
	v_fma_f64 v[6:7], v[61:62], s[14:15], v[39:40]
	v_add_f64 v[36:37], v[85:86], v[28:29]
	v_add_f64 v[4:5], v[26:27], v[4:5]
	v_fma_f64 v[28:29], v[79:80], s[12:13], v[32:33]
	v_fma_f64 v[32:33], v[79:80], s[2:3], v[34:35]
	v_add_f64 v[34:35], v[47:48], v[51:52]
	v_add_f64 v[79:80], v[45:46], -v[57:58]
	v_add_f64 v[85:86], v[43:44], -v[55:56]
	v_fma_f64 v[6:7], v[59:60], s[2:3], v[6:7]
	v_fma_f64 v[30:31], v[36:37], s[18:19], v[30:31]
	;; [unrolled: 1-line block ×4, first 2 shown]
	v_add_f64 v[4:5], v[43:44], -v[47:48]
	v_fma_f64 v[26:27], v[36:37], s[18:19], v[6:7]
	v_add_f64 v[6:7], v[55:56], -v[51:52]
	s_delay_alu instid0(VALU_DEP_1) | instskip(SKIP_2) | instid1(VALU_DEP_1)
	v_add_f64 v[39:40], v[4:5], v[6:7]
	v_add_f64 v[4:5], v[45:46], -v[49:50]
	v_add_f64 v[6:7], v[57:58], -v[53:54]
	v_add_f64 v[41:42], v[4:5], v[6:7]
	ds_load_b128 v[4:7], v99 offset:1008
	s_waitcnt lgkmcnt(0)
	v_fma_f64 v[59:60], v[34:35], -0.5, v[4:5]
	v_add_f64 v[34:35], v[49:50], v[53:54]
	s_delay_alu instid0(VALU_DEP_1) | instskip(NEXT) | instid1(VALU_DEP_3)
	v_fma_f64 v[61:62], v[34:35], -0.5, v[6:7]
	v_fma_f64 v[34:35], v[79:80], s[16:17], v[59:60]
	v_fma_f64 v[59:60], v[79:80], s[14:15], v[59:60]
	s_delay_alu instid0(VALU_DEP_3) | instskip(SKIP_1) | instid1(VALU_DEP_4)
	v_fma_f64 v[36:37], v[85:86], s[14:15], v[61:62]
	v_fma_f64 v[61:62], v[85:86], s[16:17], v[61:62]
	;; [unrolled: 1-line block ×3, first 2 shown]
	s_delay_alu instid0(VALU_DEP_4) | instskip(NEXT) | instid1(VALU_DEP_4)
	v_fma_f64 v[59:60], v[81:82], s[12:13], v[59:60]
	v_fma_f64 v[36:37], v[87:88], s[12:13], v[36:37]
	s_delay_alu instid0(VALU_DEP_4) | instskip(NEXT) | instid1(VALU_DEP_4)
	v_fma_f64 v[61:62], v[87:88], s[2:3], v[61:62]
	v_fma_f64 v[34:35], v[39:40], s[18:19], v[34:35]
	s_delay_alu instid0(VALU_DEP_4) | instskip(SKIP_4) | instid1(VALU_DEP_4)
	v_fma_f64 v[39:40], v[39:40], s[18:19], v[59:60]
	v_add_f64 v[59:60], v[43:44], v[55:56]
	v_fma_f64 v[36:37], v[41:42], s[18:19], v[36:37]
	v_fma_f64 v[41:42], v[41:42], s[18:19], v[61:62]
	v_add_f64 v[61:62], v[45:46], v[57:58]
	v_fma_f64 v[59:60], v[59:60], -0.5, v[4:5]
	v_add_f64 v[4:5], v[4:5], v[43:44]
	s_delay_alu instid0(VALU_DEP_3) | instskip(SKIP_1) | instid1(VALU_DEP_3)
	v_fma_f64 v[61:62], v[61:62], -0.5, v[6:7]
	v_add_f64 v[6:7], v[6:7], v[45:46]
	v_add_f64 v[4:5], v[4:5], v[47:48]
	v_add_f64 v[47:48], v[49:50], -v[45:46]
	s_delay_alu instid0(VALU_DEP_3) | instskip(SKIP_1) | instid1(VALU_DEP_4)
	v_add_f64 v[6:7], v[6:7], v[49:50]
	v_add_f64 v[49:50], v[51:52], -v[55:56]
	v_add_f64 v[4:5], v[4:5], v[51:52]
	v_fma_f64 v[51:52], v[81:82], s[16:17], v[59:60]
	s_delay_alu instid0(VALU_DEP_4) | instskip(NEXT) | instid1(VALU_DEP_3)
	v_add_f64 v[6:7], v[6:7], v[53:54]
	v_add_f64 v[43:44], v[4:5], v[55:56]
	v_add_f64 v[4:5], v[53:54], -v[57:58]
	v_fma_f64 v[53:54], v[87:88], s[16:17], v[61:62]
	v_fma_f64 v[55:56], v[87:88], s[14:15], v[61:62]
	;; [unrolled: 1-line block ×3, first 2 shown]
	v_add_f64 v[87:88], v[69:70], -v[73:74]
	v_add_f64 v[45:46], v[6:7], v[57:58]
	v_fma_f64 v[6:7], v[81:82], s[14:15], v[59:60]
	v_add_f64 v[57:58], v[89:90], v[49:50]
	v_add_f64 v[4:5], v[47:48], v[4:5]
	v_fma_f64 v[49:50], v[85:86], s[12:13], v[53:54]
	v_fma_f64 v[53:54], v[85:86], s[2:3], v[55:56]
	v_add_f64 v[55:56], v[77:78], -v[73:74]
	v_add_f64 v[59:60], v[67:68], v[71:72]
	v_add_f64 v[85:86], v[65:66], -v[77:78]
	v_add_f64 v[89:90], v[63:64], -v[75:76]
	v_fma_f64 v[6:7], v[79:80], s[2:3], v[6:7]
	v_fma_f64 v[51:52], v[57:58], s[18:19], v[51:52]
	v_fma_f64 v[49:50], v[4:5], s[18:19], v[49:50]
	v_fma_f64 v[53:54], v[4:5], s[18:19], v[53:54]
	v_add_f64 v[4:5], v[63:64], -v[67:68]
	v_fma_f64 v[47:48], v[57:58], s[18:19], v[6:7]
	v_add_f64 v[6:7], v[75:76], -v[71:72]
	s_delay_alu instid0(VALU_DEP_1) | instskip(SKIP_1) | instid1(VALU_DEP_1)
	v_add_f64 v[4:5], v[4:5], v[6:7]
	v_add_f64 v[6:7], v[65:66], -v[69:70]
	v_add_f64 v[6:7], v[6:7], v[55:56]
	ds_load_b128 v[55:58], v99 offset:2016
	s_waitcnt lgkmcnt(0)
	s_barrier
	buffer_gl0_inv
	ds_store_b128 v98, v[22:25]
	ds_store_b128 v98, v[14:17] offset:432
	ds_store_b128 v98, v[26:29] offset:864
	ds_store_b128 v98, v[30:33] offset:1296
	ds_store_b128 v98, v[18:21] offset:1728
	ds_store_b128 v8, v[43:46]
	ds_store_b128 v8, v[34:37] offset:432
	ds_store_b128 v8, v[47:50] offset:864
	ds_store_b128 v8, v[51:54] offset:1296
	scratch_store_b32 off, v8, off offset:416 ; 4-byte Folded Spill
	ds_store_b128 v8, v[39:42] offset:1728
	v_and_b32_e32 v8, 0xffff, v12
                                        ; implicit-def: $vgpr24_vgpr25
                                        ; implicit-def: $vgpr28_vgpr29
                                        ; implicit-def: $vgpr32_vgpr33
                                        ; implicit-def: $vgpr36_vgpr37
                                        ; implicit-def: $vgpr20_vgpr21
                                        ; implicit-def: $vgpr16_vgpr17
	s_delay_alu instid0(VALU_DEP_1) | instskip(NEXT) | instid1(VALU_DEP_1)
	v_mul_u32_u24_e32 v8, 0x87, v8
	v_add_lshl_u32 v10, v8, v13, 4
	v_fma_f64 v[79:80], v[59:60], -0.5, v[55:56]
	v_add_f64 v[59:60], v[69:70], v[73:74]
	s_delay_alu instid0(VALU_DEP_1) | instskip(NEXT) | instid1(VALU_DEP_3)
	v_fma_f64 v[81:82], v[59:60], -0.5, v[57:58]
	v_fma_f64 v[59:60], v[85:86], s[16:17], v[79:80]
	v_fma_f64 v[79:80], v[85:86], s[14:15], v[79:80]
	s_delay_alu instid0(VALU_DEP_3) | instskip(SKIP_1) | instid1(VALU_DEP_4)
	v_fma_f64 v[61:62], v[89:90], s[14:15], v[81:82]
	v_fma_f64 v[81:82], v[89:90], s[16:17], v[81:82]
	;; [unrolled: 1-line block ×3, first 2 shown]
	s_delay_alu instid0(VALU_DEP_4) | instskip(NEXT) | instid1(VALU_DEP_4)
	v_fma_f64 v[79:80], v[87:88], s[12:13], v[79:80]
	v_fma_f64 v[61:62], v[91:92], s[12:13], v[61:62]
	s_delay_alu instid0(VALU_DEP_4) | instskip(NEXT) | instid1(VALU_DEP_4)
	v_fma_f64 v[81:82], v[91:92], s[2:3], v[81:82]
	v_fma_f64 v[59:60], v[4:5], s[18:19], v[59:60]
	s_delay_alu instid0(VALU_DEP_4) | instskip(SKIP_4) | instid1(VALU_DEP_4)
	v_fma_f64 v[4:5], v[4:5], s[18:19], v[79:80]
	v_add_f64 v[79:80], v[63:64], v[75:76]
	v_fma_f64 v[61:62], v[6:7], s[18:19], v[61:62]
	v_fma_f64 v[6:7], v[6:7], s[18:19], v[81:82]
	v_add_f64 v[81:82], v[65:66], v[77:78]
	v_fma_f64 v[79:80], v[79:80], -0.5, v[55:56]
	v_add_f64 v[55:56], v[55:56], v[63:64]
	v_add_f64 v[63:64], v[67:68], -v[63:64]
	s_delay_alu instid0(VALU_DEP_4) | instskip(SKIP_4) | instid1(VALU_DEP_4)
	v_fma_f64 v[81:82], v[81:82], -0.5, v[57:58]
	v_add_f64 v[57:58], v[57:58], v[65:66]
	v_add_f64 v[65:66], v[69:70], -v[65:66]
	v_add_f64 v[55:56], v[55:56], v[67:68]
	v_add_f64 v[67:68], v[71:72], -v[75:76]
	;; [unrolled: 2-line block ×3, first 2 shown]
	s_delay_alu instid0(VALU_DEP_4)
	v_add_f64 v[55:56], v[55:56], v[71:72]
	v_fma_f64 v[71:72], v[87:88], s[14:15], v[79:80]
	v_add_f64 v[67:68], v[63:64], v[67:68]
	v_add_f64 v[57:58], v[57:58], v[73:74]
	v_fma_f64 v[73:74], v[87:88], s[16:17], v[79:80]
	v_add_f64 v[55:56], v[55:56], v[75:76]
	v_fma_f64 v[75:76], v[91:92], s[16:17], v[81:82]
	;; [unrolled: 2-line block ×4, first 2 shown]
	v_fma_f64 v[71:72], v[85:86], s[12:13], v[73:74]
	v_fma_f64 v[65:66], v[89:90], s[12:13], v[75:76]
	;; [unrolled: 1-line block ×3, first 2 shown]
	s_delay_alu instid0(VALU_DEP_4) | instskip(NEXT) | instid1(VALU_DEP_4)
	v_fma_f64 v[73:74], v[89:90], s[2:3], v[77:78]
	v_fma_f64 v[67:68], v[67:68], s[18:19], v[71:72]
	s_delay_alu instid0(VALU_DEP_4) | instskip(SKIP_1) | instid1(VALU_DEP_3)
	v_fma_f64 v[65:66], v[69:70], s[18:19], v[65:66]
	s_load_b64 s[2:3], s[0:1], 0x38
	v_fma_f64 v[69:70], v[69:70], s[18:19], v[73:74]
	ds_store_b128 v10, v[55:58]
	ds_store_b128 v10, v[59:62] offset:432
	ds_store_b128 v10, v[63:66] offset:864
	;; [unrolled: 1-line block ×3, first 2 shown]
	scratch_store_b32 off, v10, off offset:412 ; 4-byte Folded Spill
	ds_store_b128 v10, v[4:7] offset:1728
	s_waitcnt lgkmcnt(0)
	s_waitcnt_vscnt null, 0x0
	s_barrier
	buffer_gl0_inv
	ds_load_b128 v[12:15], v99
	ds_load_b128 v[8:11], v99 offset:1008
	ds_load_b128 v[100:103], v99 offset:2160
	;; [unrolled: 1-line block ×13, first 2 shown]
	s_and_saveexec_b32 s0, vcc_lo
	s_cbranch_execz .LBB0_3
; %bb.2:
	ds_load_b128 v[4:7], v99 offset:2016
	ds_load_b128 v[24:27], v99 offset:4176
	;; [unrolled: 1-line block ×7, first 2 shown]
.LBB0_3:
	s_or_b32 exec_lo, exec_lo, s0
	scratch_load_b32 v89, off, off          ; 4-byte Folded Reload
	s_mov_b32 s26, 0x37e14327
	s_mov_b32 s20, 0x36b3c0b5
	;; [unrolled: 1-line block ×16, first 2 shown]
	s_waitcnt vmcnt(0)
	v_mad_u64_u32 v[85:86], null, 0x60, v89, s[10:11]
	s_clause 0x3
	global_load_b128 v[90:93], v[85:86], off offset:2160
	global_load_b128 v[94:97], v[85:86], off offset:2144
	;; [unrolled: 1-line block ×4, first 2 shown]
	s_waitcnt vmcnt(3)
	scratch_store_b128 off, v[90:93], off offset:268 ; 16-byte Folded Spill
	s_waitcnt vmcnt(2)
	scratch_store_b128 off, v[94:97], off offset:284 ; 16-byte Folded Spill
	;; [unrolled: 2-line block ×3, first 2 shown]
	s_waitcnt vmcnt(0) lgkmcnt(11)
	v_mul_f64 v[87:88], v[102:103], v[114:115]
	scratch_store_b128 off, v[112:115], off offset:316 ; 16-byte Folded Spill
	v_fma_f64 v[104:105], v[100:101], v[112:113], -v[87:88]
	v_mul_f64 v[87:88], v[100:101], v[114:115]
	s_delay_alu instid0(VALU_DEP_1) | instskip(SKIP_2) | instid1(VALU_DEP_1)
	v_fma_f64 v[106:107], v[102:103], v[112:113], v[87:88]
	s_waitcnt lgkmcnt(9)
	v_mul_f64 v[87:88], v[82:83], v[110:111]
	v_fma_f64 v[100:101], v[80:81], v[108:109], -v[87:88]
	v_mul_f64 v[80:81], v[80:81], v[110:111]
	s_delay_alu instid0(VALU_DEP_1) | instskip(SKIP_2) | instid1(VALU_DEP_1)
	v_fma_f64 v[80:81], v[82:83], v[108:109], v[80:81]
	s_waitcnt lgkmcnt(7)
	v_mul_f64 v[82:83], v[78:79], v[96:97]
	;; [unrolled: 6-line block ×3, first 2 shown]
	v_fma_f64 v[108:109], v[72:73], v[90:91], -v[76:77]
	v_mul_f64 v[72:73], v[72:73], v[92:93]
	s_delay_alu instid0(VALU_DEP_1)
	v_fma_f64 v[110:111], v[74:75], v[90:91], v[72:73]
	s_clause 0x1
	global_load_b128 v[74:77], v[85:86], off offset:2192
	global_load_b128 v[90:93], v[85:86], off offset:2176
	s_waitcnt vmcnt(1)
	scratch_store_b128 off, v[74:77], off offset:364 ; 16-byte Folded Spill
	s_waitcnt vmcnt(0) lgkmcnt(3)
	v_mul_f64 v[72:73], v[70:71], v[92:93]
	scratch_store_b128 off, v[90:93], off offset:380 ; 16-byte Folded Spill
	v_fma_f64 v[112:113], v[68:69], v[90:91], -v[72:73]
	v_mul_f64 v[68:69], v[68:69], v[92:93]
	v_add_co_u32 v72, s0, 0x17a0, v85
	s_delay_alu instid0(VALU_DEP_1) | instskip(NEXT) | instid1(VALU_DEP_3)
	v_add_co_ci_u32_e64 v73, s0, 0, v86, s0
	v_fma_f64 v[114:115], v[70:71], v[90:91], v[68:69]
	s_waitcnt lgkmcnt(1)
	v_mul_f64 v[68:69], v[66:67], v[76:77]
	s_delay_alu instid0(VALU_DEP_1) | instskip(SKIP_1) | instid1(VALU_DEP_1)
	v_fma_f64 v[116:117], v[64:65], v[74:75], -v[68:69]
	v_mul_f64 v[64:65], v[64:65], v[76:77]
	v_fma_f64 v[118:119], v[66:67], v[74:75], v[64:65]
	s_clause 0x3
	global_load_b128 v[74:77], v[72:73], off offset:2160
	global_load_b128 v[85:88], v[72:73], off offset:2144
	;; [unrolled: 1-line block ×4, first 2 shown]
	s_waitcnt vmcnt(3)
	scratch_store_b128 off, v[74:77], off offset:332 ; 16-byte Folded Spill
	s_waitcnt vmcnt(2)
	scratch_store_b128 off, v[85:88], off offset:348 ; 16-byte Folded Spill
	;; [unrolled: 2-line block ×3, first 2 shown]
	s_clause 0x1
	global_load_b128 v[124:127], v[72:73], off offset:2192
	global_load_b128 v[128:131], v[72:73], off offset:2176
	s_waitcnt vmcnt(2)
	v_mul_f64 v[64:65], v[62:63], v[122:123]
	s_delay_alu instid0(VALU_DEP_1) | instskip(SKIP_1) | instid1(VALU_DEP_1)
	v_fma_f64 v[66:67], v[60:61], v[120:121], -v[64:65]
	v_mul_f64 v[60:61], v[60:61], v[122:123]
	v_fma_f64 v[70:71], v[62:63], v[120:121], v[60:61]
	v_mul_f64 v[60:61], v[58:59], v[92:93]
	s_delay_alu instid0(VALU_DEP_1) | instskip(SKIP_1) | instid1(VALU_DEP_1)
	v_fma_f64 v[60:61], v[56:57], v[90:91], -v[60:61]
	v_mul_f64 v[56:57], v[56:57], v[92:93]
	v_fma_f64 v[62:63], v[58:59], v[90:91], v[56:57]
	;; [unrolled: 5-line block ×4, first 2 shown]
	s_waitcnt vmcnt(0)
	v_mul_f64 v[48:49], v[46:47], v[130:131]
	s_delay_alu instid0(VALU_DEP_1) | instskip(SKIP_1) | instid1(VALU_DEP_1)
	v_fma_f64 v[72:73], v[44:45], v[128:129], -v[48:49]
	v_mul_f64 v[44:45], v[44:45], v[130:131]
	v_fma_f64 v[74:75], v[46:47], v[128:129], v[44:45]
	s_waitcnt lgkmcnt(0)
	v_mul_f64 v[44:45], v[42:43], v[126:127]
	s_delay_alu instid0(VALU_DEP_1) | instskip(SKIP_1) | instid1(VALU_DEP_1)
	v_fma_f64 v[76:77], v[40:41], v[124:125], -v[44:45]
	v_mul_f64 v[40:41], v[40:41], v[126:127]
	v_fma_f64 v[78:79], v[42:43], v[124:125], v[40:41]
	v_add_nc_u32_e32 v40, -9, v89
	s_delay_alu instid0(VALU_DEP_1) | instskip(NEXT) | instid1(VALU_DEP_1)
	v_cndmask_b32_e32 v40, v40, v84, vcc_lo
	v_mul_hi_i32_i24_e32 v41, 0x60, v40
	v_mul_i32_i24_e32 v40, 0x60, v40
	s_delay_alu instid0(VALU_DEP_1) | instskip(NEXT) | instid1(VALU_DEP_1)
	v_add_co_u32 v40, s0, s10, v40
	v_add_co_ci_u32_e64 v41, s0, s11, v41, s0
	s_clause 0x3
	global_load_b128 v[44:47], v[40:41], off offset:2160
	global_load_b128 v[48:51], v[40:41], off offset:2144
	;; [unrolled: 1-line block ×4, first 2 shown]
	s_mov_b32 s10, 0x429ad128
	s_mov_b32 s11, 0x3febfeb5
	;; [unrolled: 1-line block ×4, first 2 shown]
	s_waitcnt vmcnt(3)
	scratch_store_b128 off, v[44:47], off offset:480 ; 16-byte Folded Spill
	s_waitcnt vmcnt(2)
	scratch_store_b128 off, v[48:51], off offset:496 ; 16-byte Folded Spill
	;; [unrolled: 2-line block ×3, first 2 shown]
	s_waitcnt vmcnt(0)
	v_mul_f64 v[42:43], v[26:27], v[86:87]
	scratch_store_b128 off, v[84:87], off offset:528 ; 16-byte Folded Spill
	v_fma_f64 v[92:93], v[24:25], v[84:85], -v[42:43]
	v_mul_f64 v[24:25], v[24:25], v[86:87]
	v_add_f64 v[42:43], v[82:83], v[108:109]
	s_delay_alu instid0(VALU_DEP_2) | instskip(SKIP_2) | instid1(VALU_DEP_2)
	v_fma_f64 v[94:95], v[26:27], v[84:85], v[24:25]
	v_mul_f64 v[24:25], v[30:31], v[54:55]
	v_mul_f64 v[26:27], v[32:33], v[50:51]
	v_fma_f64 v[88:89], v[28:29], v[52:53], -v[24:25]
	v_mul_f64 v[24:25], v[28:29], v[54:55]
	v_mul_f64 v[28:29], v[38:39], v[46:47]
	s_delay_alu instid0(VALU_DEP_4) | instskip(NEXT) | instid1(VALU_DEP_3)
	v_fma_f64 v[26:27], v[34:35], v[48:49], v[26:27]
	v_fma_f64 v[90:91], v[30:31], v[52:53], v[24:25]
	v_mul_f64 v[24:25], v[34:35], v[50:51]
	s_delay_alu instid0(VALU_DEP_4) | instskip(SKIP_2) | instid1(VALU_DEP_4)
	v_fma_f64 v[84:85], v[36:37], v[44:45], -v[28:29]
	v_mul_f64 v[28:29], v[36:37], v[46:47]
	v_add_f64 v[46:47], v[108:109], -v[82:83]
	v_fma_f64 v[24:25], v[32:33], v[48:49], -v[24:25]
	s_clause 0x1
	global_load_b128 v[30:33], v[40:41], off offset:2192
	global_load_b128 v[34:37], v[40:41], off offset:2176
	v_fma_f64 v[86:87], v[38:39], v[44:45], v[28:29]
	v_add_f64 v[38:39], v[100:101], -v[112:113]
	v_add_f64 v[40:41], v[80:81], -v[114:115]
	v_add_f64 v[44:45], v[102:103], v[110:111]
	v_add_f64 v[48:49], v[110:111], -v[102:103]
	s_delay_alu instid0(VALU_DEP_4)
	v_add_f64 v[102:103], v[46:47], -v[38:39]
	s_waitcnt vmcnt(1)
	scratch_store_b128 off, v[30:33], off offset:544 ; 16-byte Folded Spill
	s_waitcnt vmcnt(0)
	v_mul_f64 v[28:29], v[22:23], v[36:37]
	scratch_store_b128 off, v[34:37], off offset:560 ; 16-byte Folded Spill
	v_fma_f64 v[96:97], v[20:21], v[34:35], -v[28:29]
	v_mul_f64 v[20:21], v[20:21], v[36:37]
	v_add_f64 v[28:29], v[106:107], v[118:119]
	v_add_f64 v[36:37], v[80:81], v[114:115]
	s_delay_alu instid0(VALU_DEP_3) | instskip(SKIP_2) | instid1(VALU_DEP_4)
	v_fma_f64 v[20:21], v[22:23], v[34:35], v[20:21]
	v_mul_f64 v[22:23], v[18:19], v[32:33]
	v_add_f64 v[34:35], v[100:101], v[112:113]
	v_add_f64 v[52:53], v[36:37], v[28:29]
	v_add_f64 v[80:81], v[36:37], -v[28:29]
	v_add_f64 v[82:83], v[28:29], -v[44:45]
	;; [unrolled: 1-line block ×3, first 2 shown]
	v_add_f64 v[28:29], v[46:47], v[38:39]
	v_add_f64 v[100:101], v[48:49], v[40:41]
	v_fma_f64 v[22:23], v[16:17], v[30:31], -v[22:23]
	v_mul_f64 v[16:17], v[16:17], v[32:33]
	v_add_f64 v[32:33], v[106:107], -v[118:119]
	v_add_f64 v[44:45], v[44:45], v[52:53]
	v_mul_f64 v[52:53], v[36:37], s[20:21]
	s_delay_alu instid0(VALU_DEP_4)
	v_fma_f64 v[16:17], v[18:19], v[30:31], v[16:17]
	v_add_f64 v[18:19], v[104:105], v[116:117]
	v_add_f64 v[30:31], v[104:105], -v[116:117]
	v_add_f64 v[104:105], v[48:49], -v[40:41]
	v_add_f64 v[40:41], v[40:41], -v[32:33]
	v_add_f64 v[48:49], v[32:33], -v[48:49]
	v_add_f64 v[32:33], v[100:101], v[32:33]
	v_fma_f64 v[52:53], v[80:81], s[14:15], -v[52:53]
	v_add_f64 v[50:51], v[34:35], v[18:19]
	v_add_f64 v[54:55], v[34:35], -v[18:19]
	v_add_f64 v[18:19], v[18:19], -v[42:43]
	v_add_f64 v[34:35], v[42:43], -v[34:35]
	v_add_f64 v[38:39], v[38:39], -v[30:31]
	v_add_f64 v[46:47], v[30:31], -v[46:47]
	v_mul_f64 v[100:101], v[104:105], s[22:23]
	v_mul_f64 v[104:105], v[40:41], s[10:11]
	v_add_f64 v[42:43], v[42:43], v[50:51]
	v_add_f64 v[50:51], v[28:29], v[30:31]
	;; [unrolled: 1-line block ×3, first 2 shown]
	v_mul_f64 v[14:15], v[82:83], s[26:27]
	v_mul_f64 v[82:83], v[102:103], s[22:23]
	v_mul_f64 v[102:103], v[38:39], s[10:11]
	v_fma_f64 v[40:41], v[40:41], s[10:11], -v[100:101]
	v_add_f64 v[28:29], v[12:13], v[42:43]
	v_mul_f64 v[12:13], v[18:19], s[26:27]
	v_mul_f64 v[18:19], v[34:35], s[20:21]
	v_fma_f64 v[44:45], v[44:45], s[24:25], v[30:31]
	v_fma_f64 v[36:37], v[36:37], s[20:21], v[14:15]
	v_fma_f64 v[14:15], v[80:81], s[16:17], -v[14:15]
	v_fma_f64 v[80:81], v[48:49], s[18:19], v[100:101]
	v_fma_f64 v[38:39], v[38:39], s[10:11], -v[82:83]
	v_fma_f64 v[48:49], v[48:49], s[12:13], -v[104:105]
	v_fma_f64 v[42:43], v[42:43], s[24:25], v[28:29]
	v_fma_f64 v[34:35], v[34:35], s[20:21], v[12:13]
	v_fma_f64 v[18:19], v[54:55], s[14:15], -v[18:19]
	v_fma_f64 v[12:13], v[54:55], s[16:17], -v[12:13]
	v_fma_f64 v[54:55], v[46:47], s[18:19], v[82:83]
	v_fma_f64 v[46:47], v[46:47], s[12:13], -v[102:103]
	v_add_f64 v[100:101], v[36:37], v[44:45]
	v_add_f64 v[52:53], v[52:53], v[44:45]
	;; [unrolled: 1-line block ×3, first 2 shown]
	v_fma_f64 v[102:103], v[50:51], s[0:1], v[38:39]
	v_fma_f64 v[44:45], v[32:33], s[0:1], v[40:41]
	;; [unrolled: 1-line block ×4, first 2 shown]
	v_add_f64 v[82:83], v[34:35], v[42:43]
	v_add_f64 v[18:19], v[18:19], v[42:43]
	;; [unrolled: 1-line block ×3, first 2 shown]
	v_fma_f64 v[54:55], v[50:51], s[0:1], v[54:55]
	v_fma_f64 v[50:51], v[50:51], s[0:1], v[46:47]
	v_add_f64 v[42:43], v[102:103], v[52:53]
	v_add_f64 v[46:47], v[52:53], -v[102:103]
	v_add_f64 v[32:33], v[80:81], v[82:83]
	v_add_f64 v[40:41], v[18:19], -v[44:45]
	v_add_f64 v[36:37], v[48:49], v[12:13]
	v_add_f64 v[44:45], v[44:45], v[18:19]
	v_add_f64 v[38:39], v[14:15], -v[50:51]
	v_add_f64 v[48:49], v[12:13], -v[48:49]
	v_add_f64 v[50:51], v[50:51], v[14:15]
	v_add_f64 v[12:13], v[66:67], v[76:77]
	;; [unrolled: 1-line block ×3, first 2 shown]
	v_add_f64 v[18:19], v[66:67], -v[76:77]
	v_add_f64 v[66:67], v[70:71], -v[78:79]
	v_add_f64 v[70:71], v[60:61], v[72:73]
	v_add_f64 v[76:77], v[62:63], v[74:75]
	v_add_f64 v[60:61], v[60:61], -v[72:73]
	v_add_f64 v[62:63], v[62:63], -v[74:75]
	v_add_f64 v[72:73], v[56:57], v[64:65]
	v_add_f64 v[74:75], v[58:59], v[68:69]
	v_add_f64 v[56:57], v[64:65], -v[56:57]
	v_add_f64 v[58:59], v[68:69], -v[58:59]
	;; [unrolled: 1-line block ×4, first 2 shown]
	v_add_f64 v[54:55], v[54:55], v[100:101]
	v_add_f64 v[64:65], v[70:71], v[12:13]
	;; [unrolled: 1-line block ×3, first 2 shown]
	v_add_f64 v[78:79], v[70:71], -v[12:13]
	v_add_f64 v[80:81], v[76:77], -v[14:15]
	;; [unrolled: 1-line block ×6, first 2 shown]
	v_add_f64 v[82:83], v[56:57], v[60:61]
	v_add_f64 v[100:101], v[58:59], v[62:63]
	v_add_f64 v[102:103], v[56:57], -v[60:61]
	v_add_f64 v[104:105], v[58:59], -v[62:63]
	;; [unrolled: 1-line block ×6, first 2 shown]
	v_add_f64 v[64:65], v[72:73], v[64:65]
	v_add_f64 v[68:69], v[74:75], v[68:69]
	;; [unrolled: 1-line block ×4, first 2 shown]
	v_mul_f64 v[72:73], v[102:103], s[22:23]
	v_mul_f64 v[74:75], v[104:105], s[22:23]
	v_mul_f64 v[82:83], v[60:61], s[10:11]
	v_mul_f64 v[100:101], v[62:63], s[10:11]
	v_add_f64 v[56:57], v[8:9], v[64:65]
	v_add_f64 v[58:59], v[10:11], v[68:69]
	v_mul_f64 v[8:9], v[12:13], s[26:27]
	v_mul_f64 v[10:11], v[14:15], s[26:27]
	;; [unrolled: 1-line block ×4, first 2 shown]
	v_fma_f64 v[60:61], v[60:61], s[10:11], -v[72:73]
	v_fma_f64 v[62:63], v[62:63], s[10:11], -v[74:75]
	v_fma_f64 v[64:65], v[64:65], s[24:25], v[56:57]
	v_fma_f64 v[68:69], v[68:69], s[24:25], v[58:59]
	;; [unrolled: 1-line block ×4, first 2 shown]
	v_fma_f64 v[12:13], v[78:79], s[14:15], -v[12:13]
	v_fma_f64 v[14:15], v[80:81], s[14:15], -v[14:15]
	;; [unrolled: 1-line block ×4, first 2 shown]
	v_fma_f64 v[78:79], v[106:107], s[18:19], v[72:73]
	v_fma_f64 v[80:81], v[108:109], s[18:19], v[74:75]
	v_fma_f64 v[72:73], v[106:107], s[12:13], -v[82:83]
	v_fma_f64 v[74:75], v[108:109], s[12:13], -v[100:101]
	v_fma_f64 v[60:61], v[18:19], s[0:1], v[60:61]
	v_fma_f64 v[62:63], v[66:67], s[0:1], v[62:63]
	v_add_f64 v[100:101], v[70:71], v[64:65]
	v_add_f64 v[102:103], v[76:77], v[68:69]
	;; [unrolled: 1-line block ×6, first 2 shown]
	v_fma_f64 v[104:105], v[18:19], s[0:1], v[78:79]
	v_fma_f64 v[106:107], v[66:67], s[0:1], v[80:81]
	;; [unrolled: 1-line block ×4, first 2 shown]
	v_add_f64 v[72:73], v[12:13], -v[62:63]
	v_add_f64 v[74:75], v[60:61], v[14:15]
	v_add_f64 v[70:71], v[14:15], -v[60:61]
	v_add_f64 v[14:15], v[94:95], -v[16:17]
	v_add_f64 v[68:69], v[62:63], v[12:13]
	v_add_f64 v[12:13], v[92:93], -v[22:23]
	;; [unrolled: 3-line block ×3, first 2 shown]
	v_add_f64 v[66:67], v[18:19], v[10:11]
	v_add_f64 v[8:9], v[92:93], v[22:23]
	;; [unrolled: 1-line block ×5, first 2 shown]
	v_add_f64 v[22:23], v[88:89], -v[96:97]
	v_add_f64 v[20:21], v[90:91], -v[20:21]
	v_add_f64 v[88:89], v[24:25], v[84:85]
	v_add_f64 v[90:91], v[26:27], v[86:87]
	v_add_f64 v[24:25], v[84:85], -v[24:25]
	v_add_f64 v[26:27], v[86:87], -v[26:27]
	v_add_f64 v[80:81], v[106:107], v[100:101]
	v_add_f64 v[82:83], v[102:103], -v[104:105]
	v_add_f64 v[60:61], v[100:101], -v[106:107]
	v_add_f64 v[62:63], v[104:105], v[102:103]
	v_add_f64 v[84:85], v[16:17], v[8:9]
	;; [unrolled: 1-line block ×3, first 2 shown]
	v_add_f64 v[92:93], v[16:17], -v[8:9]
	v_add_f64 v[94:95], v[18:19], -v[10:11]
	v_add_f64 v[96:97], v[8:9], -v[88:89]
	v_add_f64 v[100:101], v[10:11], -v[90:91]
	v_add_f64 v[16:17], v[88:89], -v[16:17]
	v_add_f64 v[18:19], v[90:91], -v[18:19]
	v_add_f64 v[8:9], v[24:25], v[22:23]
	v_add_f64 v[10:11], v[26:27], v[20:21]
	v_add_f64 v[102:103], v[24:25], -v[22:23]
	v_add_f64 v[104:105], v[26:27], -v[20:21]
	;; [unrolled: 1-line block ×6, first 2 shown]
	v_add_f64 v[84:85], v[88:89], v[84:85]
	v_add_f64 v[86:87], v[90:91], v[86:87]
	v_mul_f64 v[88:89], v[16:17], s[20:21]
	v_mul_f64 v[90:91], v[18:19], s[20:21]
	v_add_f64 v[12:13], v[8:9], v[12:13]
	v_add_f64 v[14:15], v[10:11], v[14:15]
	;; [unrolled: 1-line block ×4, first 2 shown]
	v_mul_f64 v[4:5], v[96:97], s[26:27]
	v_mul_f64 v[6:7], v[100:101], s[26:27]
	v_mul_f64 v[96:97], v[102:103], s[22:23]
	v_mul_f64 v[100:101], v[104:105], s[22:23]
	v_mul_f64 v[102:103], v[22:23], s[10:11]
	v_mul_f64 v[104:105], v[20:21], s[10:11]
	v_fma_f64 v[88:89], v[92:93], s[14:15], -v[88:89]
	v_fma_f64 v[90:91], v[94:95], s[14:15], -v[90:91]
	v_fma_f64 v[84:85], v[84:85], s[24:25], v[8:9]
	v_fma_f64 v[86:87], v[86:87], s[24:25], v[10:11]
	;; [unrolled: 1-line block ×4, first 2 shown]
	v_fma_f64 v[4:5], v[92:93], s[16:17], -v[4:5]
	v_fma_f64 v[6:7], v[94:95], s[16:17], -v[6:7]
	v_fma_f64 v[92:93], v[24:25], s[18:19], v[96:97]
	v_fma_f64 v[94:95], v[26:27], s[18:19], v[100:101]
	v_fma_f64 v[22:23], v[22:23], s[10:11], -v[96:97]
	v_fma_f64 v[20:21], v[20:21], s[10:11], -v[100:101]
	;; [unrolled: 1-line block ×4, first 2 shown]
	v_add_f64 v[96:97], v[16:17], v[84:85]
	v_add_f64 v[100:101], v[18:19], v[86:87]
	;; [unrolled: 1-line block ×4, first 2 shown]
	v_fma_f64 v[88:89], v[12:13], s[0:1], v[92:93]
	v_fma_f64 v[90:91], v[14:15], s[0:1], v[94:95]
	v_add_f64 v[84:85], v[4:5], v[84:85]
	v_add_f64 v[86:87], v[6:7], v[86:87]
	v_fma_f64 v[22:23], v[12:13], s[0:1], v[22:23]
	v_fma_f64 v[20:21], v[14:15], s[0:1], v[20:21]
	;; [unrolled: 1-line block ×4, first 2 shown]
	v_add_f64 v[6:7], v[100:101], -v[88:89]
	v_add_f64 v[4:5], v[90:91], v[96:97]
	v_add_f64 v[14:15], v[22:23], v[18:19]
	v_add_f64 v[12:13], v[16:17], -v[20:21]
	v_add_f64 v[16:17], v[20:21], v[16:17]
	v_add_f64 v[18:19], v[18:19], -v[22:23]
	v_add_f64 v[20:21], v[84:85], -v[26:27]
	v_add_f64 v[22:23], v[24:25], v[86:87]
	scratch_store_b128 off, v[4:7], off offset:4 ; 16-byte Folded Spill
	v_add_f64 v[4:5], v[26:27], v[84:85]
	v_add_f64 v[6:7], v[86:87], -v[24:25]
	v_add_f64 v[24:25], v[96:97], -v[90:91]
	v_add_f64 v[26:27], v[88:89], v[100:101]
	ds_store_b128 v99, v[28:31]
	ds_store_b128 v99, v[32:35] offset:2160
	ds_store_b128 v99, v[36:39] offset:4320
	;; [unrolled: 1-line block ×13, first 2 shown]
	s_and_saveexec_b32 s0, vcc_lo
	s_cbranch_execz .LBB0_5
; %bb.4:
	ds_store_b128 v99, v[8:11] offset:2016
	scratch_load_b128 v[8:11], off, off offset:4 ; 16-byte Folded Reload
	s_waitcnt vmcnt(0)
	ds_store_b128 v99, v[8:11] offset:4176
	ds_store_b128 v99, v[4:7] offset:6336
	;; [unrolled: 1-line block ×6, first 2 shown]
.LBB0_5:
	s_or_b32 exec_lo, exec_lo, s0
	scratch_load_b32 v8, off, off           ; 4-byte Folded Reload
	s_waitcnt vmcnt(0) lgkmcnt(0)
	s_waitcnt_vscnt null, 0x0
	s_barrier
	buffer_gl0_inv
	ds_load_b128 v[28:31], v99
	s_mov_b32 s13, 0x3fee6f0e
	s_mov_b32 s15, 0x3fe2cf23
	;; [unrolled: 1-line block ×4, first 2 shown]
	v_lshlrev_b32_e32 v8, 4, v8
	s_delay_alu instid0(VALU_DEP_1) | instskip(NEXT) | instid1(VALU_DEP_1)
	v_add_co_u32 v10, s0, s8, v8
	v_add_co_ci_u32_e64 v11, null, s9, 0, s0
	s_mov_b32 s9, 0x3febb67a
	s_delay_alu instid0(VALU_DEP_2) | instskip(NEXT) | instid1(VALU_DEP_1)
	v_add_co_u32 v8, s0, 0x3b10, v10
	v_add_co_ci_u32_e64 v9, s0, 0, v11, s0
	v_add_co_u32 v32, s0, 0x3000, v10
	s_delay_alu instid0(VALU_DEP_1) | instskip(SKIP_3) | instid1(VALU_DEP_1)
	v_add_co_ci_u32_e64 v33, s0, 0, v11, s0
	global_load_b128 v[32:35], v[32:33], off offset:2832
	s_waitcnt vmcnt(0) lgkmcnt(0)
	v_mul_f64 v[36:37], v[30:31], v[34:35]
	v_fma_f64 v[36:37], v[28:29], v[32:33], -v[36:37]
	v_mul_f64 v[28:29], v[28:29], v[34:35]
	s_delay_alu instid0(VALU_DEP_1) | instskip(SKIP_1) | instid1(VALU_DEP_1)
	v_fma_f64 v[38:39], v[30:31], v[32:33], v[28:29]
	v_add_co_u32 v32, s0, 0x4000, v10
	v_add_co_ci_u32_e64 v33, s0, 0, v11, s0
	ds_load_b128 v[28:31], v99 offset:5040
	v_add_co_u32 v40, s0, 0x6000, v10
	global_load_b128 v[32:35], v[32:33], off offset:3776
	v_add_co_ci_u32_e64 v41, s0, 0, v11, s0
	v_add_co_u32 v42, s0, 0x5000, v10
	s_delay_alu instid0(VALU_DEP_1) | instskip(SKIP_3) | instid1(VALU_DEP_1)
	v_add_co_ci_u32_e64 v43, s0, 0, v11, s0
	ds_store_b128 v99, v[36:39]
	s_waitcnt vmcnt(0) lgkmcnt(1)
	v_mul_f64 v[36:37], v[30:31], v[34:35]
	v_fma_f64 v[36:37], v[28:29], v[32:33], -v[36:37]
	v_mul_f64 v[28:29], v[28:29], v[34:35]
	s_delay_alu instid0(VALU_DEP_1)
	v_fma_f64 v[38:39], v[30:31], v[32:33], v[28:29]
	global_load_b128 v[32:35], v[40:41], off offset:624
	ds_load_b128 v[28:31], v99 offset:10080
	ds_store_b128 v99, v[36:39] offset:5040
	s_waitcnt vmcnt(0) lgkmcnt(1)
	v_mul_f64 v[36:37], v[30:31], v[34:35]
	s_delay_alu instid0(VALU_DEP_1) | instskip(SKIP_1) | instid1(VALU_DEP_1)
	v_fma_f64 v[36:37], v[28:29], v[32:33], -v[36:37]
	v_mul_f64 v[28:29], v[28:29], v[34:35]
	v_fma_f64 v[38:39], v[30:31], v[32:33], v[28:29]
	global_load_b128 v[32:35], v[8:9], off offset:1008
	ds_load_b128 v[28:31], v99 offset:1008
	ds_store_b128 v99, v[36:39] offset:10080
	s_waitcnt vmcnt(0) lgkmcnt(1)
	v_mul_f64 v[36:37], v[30:31], v[34:35]
	s_delay_alu instid0(VALU_DEP_1) | instskip(SKIP_1) | instid1(VALU_DEP_1)
	v_fma_f64 v[36:37], v[28:29], v[32:33], -v[36:37]
	v_mul_f64 v[28:29], v[28:29], v[34:35]
	;; [unrolled: 9-line block ×12, first 2 shown]
	v_fma_f64 v[38:39], v[30:31], v[32:33], v[8:9]
	v_add_co_u32 v8, s0, 0x7000, v10
	s_delay_alu instid0(VALU_DEP_1)
	v_add_co_ci_u32_e64 v9, s0, 0, v11, s0
	ds_load_b128 v[28:31], v99 offset:14112
	s_mov_b32 s0, 0xe8584caa
	s_mov_b32 s1, 0xbfebb67a
	global_load_b128 v[8:11], v[8:9], off offset:560
	s_mov_b32 s8, s0
	s_waitcnt vmcnt(0) lgkmcnt(0)
	v_mul_f64 v[32:33], v[30:31], v[10:11]
	v_mul_f64 v[10:11], v[28:29], v[10:11]
	s_delay_alu instid0(VALU_DEP_2) | instskip(NEXT) | instid1(VALU_DEP_2)
	v_fma_f64 v[32:33], v[28:29], v[8:9], -v[32:33]
	v_fma_f64 v[34:35], v[30:31], v[8:9], v[10:11]
	ds_store_b128 v99, v[36:39] offset:9072
	ds_store_b128 v99, v[32:35] offset:14112
	s_waitcnt lgkmcnt(0)
	s_barrier
	buffer_gl0_inv
	ds_load_b128 v[8:11], v99
	ds_load_b128 v[28:31], v99 offset:5040
	ds_load_b128 v[32:35], v99 offset:10080
	;; [unrolled: 1-line block ×14, first 2 shown]
	s_waitcnt lgkmcnt(0)
	s_barrier
	buffer_gl0_inv
	v_add_f64 v[84:85], v[8:9], v[28:29]
	v_add_f64 v[86:87], v[28:29], v[32:33]
	v_add_f64 v[88:89], v[30:31], -v[34:35]
	v_add_f64 v[28:29], v[28:29], -v[32:33]
	s_delay_alu instid0(VALU_DEP_4) | instskip(NEXT) | instid1(VALU_DEP_4)
	v_add_f64 v[84:85], v[84:85], v[32:33]
	v_fma_f64 v[86:87], v[86:87], -0.5, v[8:9]
	s_delay_alu instid0(VALU_DEP_1) | instskip(SKIP_3) | instid1(VALU_DEP_2)
	v_fma_f64 v[8:9], v[88:89], s[0:1], v[86:87]
	v_fma_f64 v[88:89], v[88:89], s[8:9], v[86:87]
	v_add_f64 v[86:87], v[10:11], v[30:31]
	v_add_f64 v[30:31], v[30:31], v[34:35]
	;; [unrolled: 1-line block ×3, first 2 shown]
	s_delay_alu instid0(VALU_DEP_2) | instskip(SKIP_1) | instid1(VALU_DEP_2)
	v_fma_f64 v[30:31], v[30:31], -0.5, v[10:11]
	v_add_f64 v[34:35], v[42:43], -v[46:47]
	v_fma_f64 v[10:11], v[28:29], s[8:9], v[30:31]
	v_fma_f64 v[90:91], v[28:29], s[0:1], v[30:31]
	v_add_f64 v[30:31], v[40:41], v[44:45]
	v_add_f64 v[28:29], v[36:37], v[40:41]
	v_add_f64 v[40:41], v[40:41], -v[44:45]
	s_delay_alu instid0(VALU_DEP_3) | instskip(NEXT) | instid1(VALU_DEP_3)
	v_fma_f64 v[30:31], v[30:31], -0.5, v[36:37]
	v_add_f64 v[28:29], v[28:29], v[44:45]
	s_delay_alu instid0(VALU_DEP_2) | instskip(SKIP_4) | instid1(VALU_DEP_3)
	v_fma_f64 v[32:33], v[34:35], s[0:1], v[30:31]
	v_fma_f64 v[36:37], v[34:35], s[8:9], v[30:31]
	v_add_f64 v[30:31], v[38:39], v[42:43]
	v_add_f64 v[34:35], v[42:43], v[46:47]
	;; [unrolled: 1-line block ×4, first 2 shown]
	s_delay_alu instid0(VALU_DEP_3) | instskip(NEXT) | instid1(VALU_DEP_3)
	v_fma_f64 v[38:39], v[34:35], -0.5, v[38:39]
	v_fma_f64 v[42:43], v[42:43], -0.5, v[48:49]
	v_add_f64 v[46:47], v[54:55], -v[58:59]
	s_delay_alu instid0(VALU_DEP_3) | instskip(SKIP_2) | instid1(VALU_DEP_4)
	v_fma_f64 v[34:35], v[40:41], s[8:9], v[38:39]
	v_fma_f64 v[38:39], v[40:41], s[0:1], v[38:39]
	v_add_f64 v[40:41], v[48:49], v[52:53]
	v_fma_f64 v[44:45], v[46:47], s[0:1], v[42:43]
	v_fma_f64 v[48:49], v[46:47], s[8:9], v[42:43]
	v_add_f64 v[42:43], v[50:51], v[54:55]
	v_add_f64 v[46:47], v[54:55], v[58:59]
	;; [unrolled: 1-line block ×3, first 2 shown]
	v_add_f64 v[52:53], v[52:53], -v[56:57]
	v_add_f64 v[40:41], v[40:41], v[56:57]
	v_add_f64 v[42:43], v[42:43], v[58:59]
	v_fma_f64 v[50:51], v[46:47], -0.5, v[50:51]
	v_fma_f64 v[54:55], v[54:55], -0.5, v[60:61]
	v_add_f64 v[58:59], v[66:67], -v[70:71]
	s_delay_alu instid0(VALU_DEP_3) | instskip(SKIP_2) | instid1(VALU_DEP_4)
	v_fma_f64 v[46:47], v[52:53], s[8:9], v[50:51]
	v_fma_f64 v[50:51], v[52:53], s[0:1], v[50:51]
	v_add_f64 v[52:53], v[60:61], v[64:65]
	v_fma_f64 v[56:57], v[58:59], s[0:1], v[54:55]
	v_fma_f64 v[60:61], v[58:59], s[8:9], v[54:55]
	v_add_f64 v[54:55], v[62:63], v[66:67]
	v_add_f64 v[58:59], v[66:67], v[70:71]
	;; [unrolled: 1-line block ×3, first 2 shown]
	v_add_f64 v[64:65], v[64:65], -v[68:69]
	v_add_f64 v[52:53], v[52:53], v[68:69]
	v_add_f64 v[54:55], v[54:55], v[70:71]
	v_fma_f64 v[62:63], v[58:59], -0.5, v[62:63]
	v_fma_f64 v[66:67], v[66:67], -0.5, v[72:73]
	v_add_f64 v[70:71], v[78:79], -v[82:83]
	s_delay_alu instid0(VALU_DEP_3) | instskip(SKIP_2) | instid1(VALU_DEP_4)
	v_fma_f64 v[58:59], v[64:65], s[8:9], v[62:63]
	v_fma_f64 v[62:63], v[64:65], s[0:1], v[62:63]
	v_add_f64 v[64:65], v[72:73], v[76:77]
	v_fma_f64 v[68:69], v[70:71], s[0:1], v[66:67]
	v_fma_f64 v[72:73], v[70:71], s[8:9], v[66:67]
	v_add_f64 v[70:71], v[78:79], v[82:83]
	v_add_f64 v[66:67], v[74:75], v[78:79]
	v_add_f64 v[76:77], v[76:77], -v[80:81]
	v_add_f64 v[64:65], v[64:65], v[80:81]
	s_delay_alu instid0(VALU_DEP_4) | instskip(NEXT) | instid1(VALU_DEP_4)
	v_fma_f64 v[74:75], v[70:71], -0.5, v[74:75]
	v_add_f64 v[66:67], v[66:67], v[82:83]
	s_delay_alu instid0(VALU_DEP_2)
	v_fma_f64 v[70:71], v[76:77], s[8:9], v[74:75]
	v_fma_f64 v[74:75], v[76:77], s[0:1], v[74:75]
	scratch_load_b32 v76, off, off offset:432 ; 4-byte Folded Reload
	s_waitcnt vmcnt(0)
	ds_store_b128 v76, v[84:87]
	ds_store_b128 v76, v[8:11] offset:16
	ds_store_b128 v76, v[88:91] offset:32
	scratch_load_b32 v8, off, off offset:436 ; 4-byte Folded Reload
	s_waitcnt vmcnt(0)
	ds_store_b128 v8, v[28:31]
	ds_store_b128 v8, v[32:35] offset:16
	ds_store_b128 v8, v[36:39] offset:32
	;; [unrolled: 5-line block ×5, first 2 shown]
	s_waitcnt lgkmcnt(0)
	s_barrier
	buffer_gl0_inv
	ds_load_b128 v[8:11], v99
	ds_load_b128 v[28:31], v99 offset:5040
	ds_load_b128 v[32:35], v99 offset:10080
	;; [unrolled: 1-line block ×14, first 2 shown]
	s_waitcnt lgkmcnt(0)
	s_barrier
	buffer_gl0_inv
	v_mul_f64 v[84:85], v[134:135], v[30:31]
	s_delay_alu instid0(VALU_DEP_1) | instskip(SKIP_1) | instid1(VALU_DEP_1)
	v_fma_f64 v[84:85], v[132:133], v[28:29], v[84:85]
	v_mul_f64 v[28:29], v[134:135], v[28:29]
	v_fma_f64 v[86:87], v[132:133], v[30:31], -v[28:29]
	v_mul_f64 v[28:29], v[138:139], v[34:35]
	s_delay_alu instid0(VALU_DEP_1) | instskip(SKIP_1) | instid1(VALU_DEP_2)
	v_fma_f64 v[88:89], v[136:137], v[32:33], v[28:29]
	v_mul_f64 v[28:29], v[138:139], v[32:33]
	v_add_f64 v[30:31], v[84:85], v[88:89]
	s_delay_alu instid0(VALU_DEP_2) | instskip(SKIP_1) | instid1(VALU_DEP_3)
	v_fma_f64 v[34:35], v[136:137], v[34:35], -v[28:29]
	v_mul_f64 v[28:29], v[150:151], v[42:43]
	v_fma_f64 v[30:31], v[30:31], -0.5, v[8:9]
	s_delay_alu instid0(VALU_DEP_3) | instskip(NEXT) | instid1(VALU_DEP_3)
	v_add_f64 v[32:33], v[86:87], -v[34:35]
	v_fma_f64 v[90:91], v[148:149], v[40:41], v[28:29]
	v_mul_f64 v[28:29], v[150:151], v[40:41]
	v_add_f64 v[40:41], v[84:85], -v[88:89]
	s_delay_alu instid0(VALU_DEP_2) | instskip(SKIP_1) | instid1(VALU_DEP_1)
	v_fma_f64 v[92:93], v[148:149], v[42:43], -v[28:29]
	v_mul_f64 v[28:29], v[146:147], v[46:47]
	v_fma_f64 v[94:95], v[144:145], v[44:45], v[28:29]
	v_mul_f64 v[28:29], v[146:147], v[44:45]
	s_delay_alu instid0(VALU_DEP_2) | instskip(NEXT) | instid1(VALU_DEP_2)
	v_add_f64 v[42:43], v[90:91], v[94:95]
	v_fma_f64 v[46:47], v[144:145], v[46:47], -v[28:29]
	v_mul_f64 v[28:29], v[158:159], v[54:55]
	s_delay_alu instid0(VALU_DEP_3) | instskip(NEXT) | instid1(VALU_DEP_3)
	v_fma_f64 v[42:43], v[42:43], -0.5, v[36:37]
	v_add_f64 v[44:45], v[92:93], -v[46:47]
	s_delay_alu instid0(VALU_DEP_3) | instskip(SKIP_2) | instid1(VALU_DEP_2)
	v_fma_f64 v[96:97], v[156:157], v[52:53], v[28:29]
	v_mul_f64 v[28:29], v[158:159], v[52:53]
	v_add_f64 v[52:53], v[90:91], -v[94:95]
	v_fma_f64 v[100:101], v[156:157], v[54:55], -v[28:29]
	v_mul_f64 v[28:29], v[154:155], v[58:59]
	s_delay_alu instid0(VALU_DEP_1) | instskip(SKIP_1) | instid1(VALU_DEP_2)
	v_fma_f64 v[102:103], v[152:153], v[56:57], v[28:29]
	v_mul_f64 v[28:29], v[154:155], v[56:57]
	v_add_f64 v[54:55], v[96:97], v[102:103]
	s_delay_alu instid0(VALU_DEP_2) | instskip(SKIP_1) | instid1(VALU_DEP_3)
	v_fma_f64 v[58:59], v[152:153], v[58:59], -v[28:29]
	v_mul_f64 v[28:29], v[166:167], v[66:67]
	v_fma_f64 v[54:55], v[54:55], -0.5, v[48:49]
	s_delay_alu instid0(VALU_DEP_3) | instskip(NEXT) | instid1(VALU_DEP_3)
	v_add_f64 v[56:57], v[100:101], -v[58:59]
	v_fma_f64 v[104:105], v[164:165], v[64:65], v[28:29]
	v_mul_f64 v[28:29], v[166:167], v[64:65]
	v_add_f64 v[64:65], v[96:97], -v[102:103]
	s_delay_alu instid0(VALU_DEP_2) | instskip(SKIP_1) | instid1(VALU_DEP_1)
	v_fma_f64 v[106:107], v[164:165], v[66:67], -v[28:29]
	v_mul_f64 v[28:29], v[162:163], v[70:71]
	v_fma_f64 v[108:109], v[160:161], v[68:69], v[28:29]
	v_mul_f64 v[28:29], v[162:163], v[68:69]
	s_delay_alu instid0(VALU_DEP_2) | instskip(NEXT) | instid1(VALU_DEP_2)
	v_add_f64 v[66:67], v[104:105], v[108:109]
	v_fma_f64 v[70:71], v[160:161], v[70:71], -v[28:29]
	v_mul_f64 v[28:29], v[170:171], v[78:79]
	s_delay_alu instid0(VALU_DEP_3) | instskip(NEXT) | instid1(VALU_DEP_3)
	v_fma_f64 v[66:67], v[66:67], -0.5, v[60:61]
	v_add_f64 v[68:69], v[106:107], -v[70:71]
	s_delay_alu instid0(VALU_DEP_3) | instskip(SKIP_2) | instid1(VALU_DEP_2)
	v_fma_f64 v[110:111], v[168:169], v[76:77], v[28:29]
	v_mul_f64 v[28:29], v[170:171], v[76:77]
	v_add_f64 v[76:77], v[104:105], -v[108:109]
	v_fma_f64 v[112:113], v[168:169], v[78:79], -v[28:29]
	v_mul_f64 v[28:29], v[142:143], v[82:83]
	s_delay_alu instid0(VALU_DEP_1) | instskip(SKIP_1) | instid1(VALU_DEP_2)
	v_fma_f64 v[114:115], v[140:141], v[80:81], v[28:29]
	v_mul_f64 v[28:29], v[142:143], v[80:81]
	v_add_f64 v[78:79], v[110:111], v[114:115]
	s_delay_alu instid0(VALU_DEP_2)
	v_fma_f64 v[82:83], v[140:141], v[82:83], -v[28:29]
	v_add_f64 v[28:29], v[8:9], v[84:85]
	v_fma_f64 v[8:9], v[32:33], s[0:1], v[30:31]
	v_fma_f64 v[32:33], v[32:33], s[8:9], v[30:31]
	v_add_f64 v[30:31], v[10:11], v[86:87]
	v_add_f64 v[84:85], v[110:111], -v[114:115]
	v_fma_f64 v[78:79], v[78:79], -0.5, v[72:73]
	v_add_f64 v[80:81], v[112:113], -v[82:83]
	v_add_f64 v[28:29], v[28:29], v[88:89]
	v_add_f64 v[30:31], v[30:31], v[34:35]
	v_add_f64 v[34:35], v[86:87], v[34:35]
	s_delay_alu instid0(VALU_DEP_1) | instskip(NEXT) | instid1(VALU_DEP_1)
	v_fma_f64 v[34:35], v[34:35], -0.5, v[10:11]
	v_fma_f64 v[10:11], v[40:41], s[8:9], v[34:35]
	v_fma_f64 v[34:35], v[40:41], s[0:1], v[34:35]
	v_add_f64 v[40:41], v[36:37], v[90:91]
	v_fma_f64 v[36:37], v[44:45], s[0:1], v[42:43]
	v_fma_f64 v[44:45], v[44:45], s[8:9], v[42:43]
	v_add_f64 v[42:43], v[38:39], v[92:93]
	s_delay_alu instid0(VALU_DEP_4) | instskip(NEXT) | instid1(VALU_DEP_2)
	v_add_f64 v[40:41], v[40:41], v[94:95]
	v_add_f64 v[42:43], v[42:43], v[46:47]
	v_add_f64 v[46:47], v[92:93], v[46:47]
	s_delay_alu instid0(VALU_DEP_1) | instskip(NEXT) | instid1(VALU_DEP_1)
	v_fma_f64 v[46:47], v[46:47], -0.5, v[38:39]
	v_fma_f64 v[38:39], v[52:53], s[8:9], v[46:47]
	v_fma_f64 v[46:47], v[52:53], s[0:1], v[46:47]
	v_add_f64 v[52:53], v[48:49], v[96:97]
	v_fma_f64 v[48:49], v[56:57], s[0:1], v[54:55]
	v_fma_f64 v[56:57], v[56:57], s[8:9], v[54:55]
	v_add_f64 v[54:55], v[50:51], v[100:101]
	s_delay_alu instid0(VALU_DEP_4) | instskip(NEXT) | instid1(VALU_DEP_2)
	v_add_f64 v[52:53], v[52:53], v[102:103]
	v_add_f64 v[54:55], v[54:55], v[58:59]
	v_add_f64 v[58:59], v[100:101], v[58:59]
	s_delay_alu instid0(VALU_DEP_1) | instskip(NEXT) | instid1(VALU_DEP_1)
	v_fma_f64 v[58:59], v[58:59], -0.5, v[50:51]
	v_fma_f64 v[50:51], v[64:65], s[8:9], v[58:59]
	v_fma_f64 v[58:59], v[64:65], s[0:1], v[58:59]
	v_add_f64 v[64:65], v[60:61], v[104:105]
	v_fma_f64 v[60:61], v[68:69], s[0:1], v[66:67]
	v_fma_f64 v[68:69], v[68:69], s[8:9], v[66:67]
	v_add_f64 v[66:67], v[62:63], v[106:107]
	s_delay_alu instid0(VALU_DEP_4) | instskip(NEXT) | instid1(VALU_DEP_2)
	v_add_f64 v[64:65], v[64:65], v[108:109]
	v_add_f64 v[66:67], v[66:67], v[70:71]
	v_add_f64 v[70:71], v[106:107], v[70:71]
	s_delay_alu instid0(VALU_DEP_1) | instskip(NEXT) | instid1(VALU_DEP_1)
	v_fma_f64 v[70:71], v[70:71], -0.5, v[62:63]
	v_fma_f64 v[62:63], v[76:77], s[8:9], v[70:71]
	v_fma_f64 v[70:71], v[76:77], s[0:1], v[70:71]
	v_add_f64 v[76:77], v[72:73], v[110:111]
	v_fma_f64 v[72:73], v[80:81], s[0:1], v[78:79]
	v_fma_f64 v[80:81], v[80:81], s[8:9], v[78:79]
	v_add_f64 v[78:79], v[74:75], v[112:113]
	s_delay_alu instid0(VALU_DEP_4) | instskip(NEXT) | instid1(VALU_DEP_2)
	v_add_f64 v[76:77], v[76:77], v[114:115]
	v_add_f64 v[78:79], v[78:79], v[82:83]
	;; [unrolled: 1-line block ×3, first 2 shown]
	s_delay_alu instid0(VALU_DEP_1) | instskip(NEXT) | instid1(VALU_DEP_1)
	v_fma_f64 v[82:83], v[82:83], -0.5, v[74:75]
	v_fma_f64 v[74:75], v[84:85], s[8:9], v[82:83]
	v_fma_f64 v[82:83], v[84:85], s[0:1], v[82:83]
	scratch_load_b32 v84, off, off offset:476 ; 4-byte Folded Reload
	s_waitcnt vmcnt(0)
	ds_store_b128 v84, v[28:31]
	ds_store_b128 v84, v[8:11] offset:48
	ds_store_b128 v84, v[32:35] offset:96
	scratch_load_b32 v8, off, off offset:468 ; 4-byte Folded Reload
	s_waitcnt vmcnt(0)
	ds_store_b128 v8, v[40:43]
	ds_store_b128 v8, v[36:39] offset:48
	ds_store_b128 v8, v[44:47] offset:96
	;; [unrolled: 5-line block ×5, first 2 shown]
	s_waitcnt lgkmcnt(0)
	s_barrier
	buffer_gl0_inv
	ds_load_b128 v[8:11], v99
	ds_load_b128 v[28:31], v99 offset:5040
	ds_load_b128 v[32:35], v99 offset:10080
	;; [unrolled: 1-line block ×14, first 2 shown]
	s_waitcnt lgkmcnt(0)
	s_barrier
	buffer_gl0_inv
	v_mul_f64 v[84:85], v[174:175], v[30:31]
	s_delay_alu instid0(VALU_DEP_1) | instskip(SKIP_1) | instid1(VALU_DEP_1)
	v_fma_f64 v[84:85], v[172:173], v[28:29], v[84:85]
	v_mul_f64 v[28:29], v[174:175], v[28:29]
	v_fma_f64 v[86:87], v[172:173], v[30:31], -v[28:29]
	v_mul_f64 v[28:29], v[186:187], v[34:35]
	s_delay_alu instid0(VALU_DEP_1) | instskip(SKIP_1) | instid1(VALU_DEP_2)
	v_fma_f64 v[88:89], v[184:185], v[32:33], v[28:29]
	v_mul_f64 v[28:29], v[186:187], v[32:33]
	v_add_f64 v[30:31], v[84:85], v[88:89]
	s_delay_alu instid0(VALU_DEP_2) | instskip(SKIP_1) | instid1(VALU_DEP_3)
	v_fma_f64 v[34:35], v[184:185], v[34:35], -v[28:29]
	v_mul_f64 v[28:29], v[194:195], v[42:43]
	v_fma_f64 v[30:31], v[30:31], -0.5, v[8:9]
	s_delay_alu instid0(VALU_DEP_3) | instskip(NEXT) | instid1(VALU_DEP_3)
	v_add_f64 v[32:33], v[86:87], -v[34:35]
	v_fma_f64 v[90:91], v[192:193], v[40:41], v[28:29]
	v_mul_f64 v[28:29], v[194:195], v[40:41]
	v_add_f64 v[40:41], v[84:85], -v[88:89]
	s_delay_alu instid0(VALU_DEP_2) | instskip(SKIP_1) | instid1(VALU_DEP_1)
	v_fma_f64 v[92:93], v[192:193], v[42:43], -v[28:29]
	v_mul_f64 v[28:29], v[190:191], v[46:47]
	v_fma_f64 v[94:95], v[188:189], v[44:45], v[28:29]
	v_mul_f64 v[28:29], v[190:191], v[44:45]
	s_delay_alu instid0(VALU_DEP_2) | instskip(NEXT) | instid1(VALU_DEP_2)
	v_add_f64 v[42:43], v[90:91], v[94:95]
	v_fma_f64 v[46:47], v[188:189], v[46:47], -v[28:29]
	v_mul_f64 v[28:29], v[202:203], v[54:55]
	s_delay_alu instid0(VALU_DEP_3) | instskip(NEXT) | instid1(VALU_DEP_3)
	v_fma_f64 v[42:43], v[42:43], -0.5, v[36:37]
	v_add_f64 v[44:45], v[92:93], -v[46:47]
	s_delay_alu instid0(VALU_DEP_3) | instskip(SKIP_2) | instid1(VALU_DEP_2)
	v_fma_f64 v[96:97], v[200:201], v[52:53], v[28:29]
	v_mul_f64 v[28:29], v[202:203], v[52:53]
	v_add_f64 v[52:53], v[90:91], -v[94:95]
	v_fma_f64 v[100:101], v[200:201], v[54:55], -v[28:29]
	v_mul_f64 v[28:29], v[198:199], v[58:59]
	s_delay_alu instid0(VALU_DEP_1) | instskip(SKIP_1) | instid1(VALU_DEP_2)
	v_fma_f64 v[102:103], v[196:197], v[56:57], v[28:29]
	v_mul_f64 v[28:29], v[198:199], v[56:57]
	v_add_f64 v[54:55], v[96:97], v[102:103]
	s_delay_alu instid0(VALU_DEP_2) | instskip(SKIP_1) | instid1(VALU_DEP_3)
	v_fma_f64 v[58:59], v[196:197], v[58:59], -v[28:29]
	v_mul_f64 v[28:29], v[214:215], v[66:67]
	v_fma_f64 v[54:55], v[54:55], -0.5, v[48:49]
	s_delay_alu instid0(VALU_DEP_3) | instskip(NEXT) | instid1(VALU_DEP_3)
	v_add_f64 v[56:57], v[100:101], -v[58:59]
	v_fma_f64 v[104:105], v[212:213], v[64:65], v[28:29]
	v_mul_f64 v[28:29], v[214:215], v[64:65]
	v_add_f64 v[64:65], v[96:97], -v[102:103]
	s_delay_alu instid0(VALU_DEP_2) | instskip(SKIP_1) | instid1(VALU_DEP_1)
	v_fma_f64 v[106:107], v[212:213], v[66:67], -v[28:29]
	v_mul_f64 v[28:29], v[206:207], v[70:71]
	v_fma_f64 v[108:109], v[204:205], v[68:69], v[28:29]
	v_mul_f64 v[28:29], v[206:207], v[68:69]
	s_delay_alu instid0(VALU_DEP_2) | instskip(NEXT) | instid1(VALU_DEP_2)
	v_add_f64 v[66:67], v[104:105], v[108:109]
	v_fma_f64 v[70:71], v[204:205], v[70:71], -v[28:29]
	v_mul_f64 v[28:29], v[218:219], v[78:79]
	s_delay_alu instid0(VALU_DEP_3) | instskip(NEXT) | instid1(VALU_DEP_3)
	v_fma_f64 v[66:67], v[66:67], -0.5, v[60:61]
	v_add_f64 v[68:69], v[106:107], -v[70:71]
	s_delay_alu instid0(VALU_DEP_3) | instskip(SKIP_2) | instid1(VALU_DEP_2)
	v_fma_f64 v[110:111], v[216:217], v[76:77], v[28:29]
	v_mul_f64 v[28:29], v[218:219], v[76:77]
	v_add_f64 v[76:77], v[104:105], -v[108:109]
	v_fma_f64 v[112:113], v[216:217], v[78:79], -v[28:29]
	v_mul_f64 v[28:29], v[182:183], v[82:83]
	s_delay_alu instid0(VALU_DEP_1) | instskip(SKIP_1) | instid1(VALU_DEP_2)
	v_fma_f64 v[114:115], v[180:181], v[80:81], v[28:29]
	v_mul_f64 v[28:29], v[182:183], v[80:81]
	v_add_f64 v[78:79], v[110:111], v[114:115]
	s_delay_alu instid0(VALU_DEP_2)
	v_fma_f64 v[82:83], v[180:181], v[82:83], -v[28:29]
	v_add_f64 v[28:29], v[8:9], v[84:85]
	v_fma_f64 v[8:9], v[32:33], s[0:1], v[30:31]
	v_fma_f64 v[32:33], v[32:33], s[8:9], v[30:31]
	v_add_f64 v[30:31], v[10:11], v[86:87]
	v_add_f64 v[84:85], v[110:111], -v[114:115]
	v_fma_f64 v[78:79], v[78:79], -0.5, v[72:73]
	v_add_f64 v[80:81], v[112:113], -v[82:83]
	v_add_f64 v[28:29], v[28:29], v[88:89]
	v_add_f64 v[30:31], v[30:31], v[34:35]
	v_add_f64 v[34:35], v[86:87], v[34:35]
	s_delay_alu instid0(VALU_DEP_1) | instskip(NEXT) | instid1(VALU_DEP_1)
	v_fma_f64 v[34:35], v[34:35], -0.5, v[10:11]
	v_fma_f64 v[10:11], v[40:41], s[8:9], v[34:35]
	v_fma_f64 v[34:35], v[40:41], s[0:1], v[34:35]
	v_add_f64 v[40:41], v[36:37], v[90:91]
	v_fma_f64 v[36:37], v[44:45], s[0:1], v[42:43]
	v_fma_f64 v[44:45], v[44:45], s[8:9], v[42:43]
	v_add_f64 v[42:43], v[38:39], v[92:93]
	s_delay_alu instid0(VALU_DEP_4) | instskip(NEXT) | instid1(VALU_DEP_2)
	v_add_f64 v[40:41], v[40:41], v[94:95]
	v_add_f64 v[42:43], v[42:43], v[46:47]
	v_add_f64 v[46:47], v[92:93], v[46:47]
	s_delay_alu instid0(VALU_DEP_1) | instskip(NEXT) | instid1(VALU_DEP_1)
	v_fma_f64 v[46:47], v[46:47], -0.5, v[38:39]
	v_fma_f64 v[38:39], v[52:53], s[8:9], v[46:47]
	v_fma_f64 v[46:47], v[52:53], s[0:1], v[46:47]
	v_add_f64 v[52:53], v[48:49], v[96:97]
	v_fma_f64 v[48:49], v[56:57], s[0:1], v[54:55]
	v_fma_f64 v[56:57], v[56:57], s[8:9], v[54:55]
	v_add_f64 v[54:55], v[50:51], v[100:101]
	s_delay_alu instid0(VALU_DEP_4) | instskip(NEXT) | instid1(VALU_DEP_2)
	;; [unrolled: 12-line block ×4, first 2 shown]
	v_add_f64 v[76:77], v[76:77], v[114:115]
	v_add_f64 v[78:79], v[78:79], v[82:83]
	;; [unrolled: 1-line block ×3, first 2 shown]
	s_delay_alu instid0(VALU_DEP_1) | instskip(NEXT) | instid1(VALU_DEP_1)
	v_fma_f64 v[82:83], v[82:83], -0.5, v[74:75]
	v_fma_f64 v[74:75], v[84:85], s[8:9], v[82:83]
	v_fma_f64 v[82:83], v[84:85], s[0:1], v[82:83]
	scratch_load_b32 v84, off, off offset:472 ; 4-byte Folded Reload
	s_mov_b32 s8, 0x134454ff
	s_mov_b32 s9, 0xbfee6f0e
	;; [unrolled: 1-line block ×6, first 2 shown]
	s_waitcnt vmcnt(0)
	ds_store_b128 v84, v[28:31]
	ds_store_b128 v84, v[8:11] offset:144
	ds_store_b128 v84, v[32:35] offset:288
	scratch_load_b32 v8, off, off offset:464 ; 4-byte Folded Reload
	s_waitcnt vmcnt(0)
	ds_store_b128 v8, v[40:43]
	ds_store_b128 v8, v[36:39] offset:144
	ds_store_b128 v8, v[44:47] offset:288
	scratch_load_b32 v8, off, off offset:456 ; 4-byte Folded Reload
	;; [unrolled: 5-line block ×4, first 2 shown]
	s_waitcnt vmcnt(0)
	ds_store_b128 v8, v[76:79]
	ds_store_b128 v8, v[72:75] offset:144
	ds_store_b128 v8, v[80:83] offset:288
	s_waitcnt lgkmcnt(0)
	s_barrier
	buffer_gl0_inv
	ds_load_b128 v[8:11], v99
	ds_load_b128 v[28:31], v99 offset:3024
	ds_load_b128 v[32:35], v99 offset:6048
	;; [unrolled: 1-line block ×14, first 2 shown]
	s_waitcnt lgkmcnt(0)
	s_barrier
	buffer_gl0_inv
	v_mul_f64 v[84:85], v[178:179], v[30:31]
	s_delay_alu instid0(VALU_DEP_1) | instskip(SKIP_1) | instid1(VALU_DEP_1)
	v_fma_f64 v[84:85], v[176:177], v[28:29], v[84:85]
	v_mul_f64 v[28:29], v[178:179], v[28:29]
	v_fma_f64 v[86:87], v[176:177], v[30:31], -v[28:29]
	v_mul_f64 v[28:29], v[210:211], v[34:35]
	s_delay_alu instid0(VALU_DEP_1) | instskip(SKIP_1) | instid1(VALU_DEP_1)
	v_fma_f64 v[30:31], v[208:209], v[32:33], v[28:29]
	v_mul_f64 v[28:29], v[210:211], v[32:33]
	v_fma_f64 v[88:89], v[208:209], v[34:35], -v[28:29]
	v_mul_f64 v[28:29], v[226:227], v[38:39]
	s_delay_alu instid0(VALU_DEP_1) | instskip(SKIP_2) | instid1(VALU_DEP_2)
	v_fma_f64 v[90:91], v[224:225], v[36:37], v[28:29]
	v_mul_f64 v[28:29], v[226:227], v[36:37]
	v_add_f64 v[36:37], v[84:85], -v[30:31]
	v_fma_f64 v[92:93], v[224:225], v[38:39], -v[28:29]
	v_mul_f64 v[28:29], v[222:223], v[42:43]
	s_delay_alu instid0(VALU_DEP_1) | instskip(SKIP_1) | instid1(VALU_DEP_1)
	v_fma_f64 v[38:39], v[220:221], v[40:41], v[28:29]
	v_mul_f64 v[28:29], v[222:223], v[40:41]
	v_fma_f64 v[40:41], v[220:221], v[42:43], -v[28:29]
	v_mul_f64 v[28:29], v[230:231], v[46:47]
	s_delay_alu instid0(VALU_DEP_2) | instskip(NEXT) | instid1(VALU_DEP_2)
	v_add_f64 v[34:35], v[86:87], -v[40:41]
	v_fma_f64 v[42:43], v[228:229], v[44:45], v[28:29]
	v_mul_f64 v[28:29], v[230:231], v[44:45]
	v_add_f64 v[44:45], v[88:89], -v[92:93]
	s_delay_alu instid0(VALU_DEP_2) | instskip(SKIP_2) | instid1(VALU_DEP_2)
	v_fma_f64 v[94:95], v[228:229], v[46:47], -v[28:29]
	v_mul_f64 v[28:29], v[238:239], v[50:51]
	v_add_f64 v[46:47], v[38:39], -v[90:91]
	v_fma_f64 v[96:97], v[236:237], v[48:49], v[28:29]
	v_mul_f64 v[28:29], v[238:239], v[48:49]
	s_delay_alu instid0(VALU_DEP_3) | instskip(SKIP_1) | instid1(VALU_DEP_3)
	v_add_f64 v[46:47], v[36:37], v[46:47]
	v_add_f64 v[48:49], v[90:91], -v[38:39]
	v_fma_f64 v[100:101], v[236:237], v[50:51], -v[28:29]
	v_mul_f64 v[28:29], v[242:243], v[54:55]
	s_delay_alu instid0(VALU_DEP_1) | instskip(SKIP_1) | instid1(VALU_DEP_1)
	v_fma_f64 v[102:103], v[240:241], v[52:53], v[28:29]
	v_mul_f64 v[28:29], v[242:243], v[52:53]
	v_fma_f64 v[104:105], v[240:241], v[54:55], -v[28:29]
	v_mul_f64 v[28:29], v[234:235], v[58:59]
	s_delay_alu instid0(VALU_DEP_1) | instskip(SKIP_1) | instid1(VALU_DEP_2)
	v_fma_f64 v[54:55], v[232:233], v[56:57], v[28:29]
	v_mul_f64 v[28:29], v[234:235], v[56:57]
	v_add_f64 v[52:53], v[54:55], -v[102:103]
	s_delay_alu instid0(VALU_DEP_2) | instskip(SKIP_1) | instid1(VALU_DEP_1)
	v_fma_f64 v[106:107], v[232:233], v[58:59], -v[28:29]
	v_mul_f64 v[28:29], v[250:251], v[66:67]
	v_fma_f64 v[108:109], v[248:249], v[64:65], v[28:29]
	v_mul_f64 v[28:29], v[250:251], v[64:65]
	v_add_f64 v[64:65], v[102:103], -v[54:55]
	s_delay_alu instid0(VALU_DEP_2) | instskip(SKIP_3) | instid1(VALU_DEP_3)
	v_fma_f64 v[110:111], v[248:249], v[66:67], -v[28:29]
	v_mul_f64 v[28:29], v[2:3], v[70:71]
	v_mul_f64 v[2:3], v[2:3], v[68:69]
	v_add_f64 v[66:67], v[104:105], -v[106:107]
	v_fma_f64 v[112:113], v[0:1], v[68:69], v[28:29]
	s_delay_alu instid0(VALU_DEP_3) | instskip(SKIP_2) | instid1(VALU_DEP_2)
	v_fma_f64 v[114:115], v[0:1], v[70:71], -v[2:3]
	v_mul_f64 v[0:1], v[254:255], v[74:75]
	v_add_f64 v[68:69], v[96:97], -v[102:103]
	v_fma_f64 v[2:3], v[252:253], v[72:73], v[0:1]
	v_mul_f64 v[0:1], v[254:255], v[72:73]
	v_add_f64 v[72:73], v[108:109], -v[112:113]
	s_delay_alu instid0(VALU_DEP_2) | instskip(SKIP_1) | instid1(VALU_DEP_2)
	v_fma_f64 v[116:117], v[252:253], v[74:75], -v[0:1]
	v_mul_f64 v[0:1], v[246:247], v[82:83]
	v_add_f64 v[70:71], v[114:115], -v[116:117]
	s_delay_alu instid0(VALU_DEP_2) | instskip(SKIP_1) | instid1(VALU_DEP_2)
	v_fma_f64 v[74:75], v[244:245], v[80:81], v[0:1]
	v_mul_f64 v[0:1], v[246:247], v[80:81]
	v_add_f64 v[80:81], v[74:75], -v[2:3]
	s_delay_alu instid0(VALU_DEP_2) | instskip(SKIP_1) | instid1(VALU_DEP_3)
	v_fma_f64 v[82:83], v[244:245], v[82:83], -v[0:1]
	v_add_f64 v[0:1], v[8:9], v[84:85]
	v_add_f64 v[80:81], v[72:73], v[80:81]
	s_delay_alu instid0(VALU_DEP_2) | instskip(NEXT) | instid1(VALU_DEP_1)
	v_add_f64 v[0:1], v[0:1], v[30:31]
	v_add_f64 v[0:1], v[0:1], v[90:91]
	s_delay_alu instid0(VALU_DEP_1) | instskip(SKIP_1) | instid1(VALU_DEP_1)
	v_add_f64 v[32:33], v[0:1], v[38:39]
	v_add_f64 v[0:1], v[30:31], v[90:91]
	v_fma_f64 v[0:1], v[0:1], -0.5, v[8:9]
	s_delay_alu instid0(VALU_DEP_1) | instskip(SKIP_1) | instid1(VALU_DEP_2)
	v_fma_f64 v[28:29], v[34:35], s[8:9], v[0:1]
	v_fma_f64 v[0:1], v[34:35], s[12:13], v[0:1]
	;; [unrolled: 1-line block ×3, first 2 shown]
	s_delay_alu instid0(VALU_DEP_2) | instskip(NEXT) | instid1(VALU_DEP_2)
	v_fma_f64 v[0:1], v[44:45], s[14:15], v[0:1]
	v_fma_f64 v[36:37], v[46:47], s[10:11], v[28:29]
	s_delay_alu instid0(VALU_DEP_2) | instskip(SKIP_2) | instid1(VALU_DEP_2)
	v_fma_f64 v[28:29], v[46:47], s[10:11], v[0:1]
	v_add_f64 v[0:1], v[84:85], v[38:39]
	v_add_f64 v[46:47], v[30:31], -v[84:85]
	v_fma_f64 v[0:1], v[0:1], -0.5, v[8:9]
	s_delay_alu instid0(VALU_DEP_2) | instskip(NEXT) | instid1(VALU_DEP_2)
	v_add_f64 v[46:47], v[46:47], v[48:49]
	v_fma_f64 v[8:9], v[44:45], s[12:13], v[0:1]
	v_fma_f64 v[0:1], v[44:45], s[8:9], v[0:1]
	v_add_f64 v[44:45], v[30:31], -v[90:91]
	s_delay_alu instid0(VALU_DEP_3) | instskip(NEXT) | instid1(VALU_DEP_3)
	v_fma_f64 v[8:9], v[34:35], s[0:1], v[8:9]
	v_fma_f64 v[0:1], v[34:35], s[14:15], v[0:1]
	s_delay_alu instid0(VALU_DEP_2) | instskip(NEXT) | instid1(VALU_DEP_2)
	v_fma_f64 v[56:57], v[46:47], s[10:11], v[8:9]
	v_fma_f64 v[48:49], v[46:47], s[10:11], v[0:1]
	v_add_f64 v[0:1], v[10:11], v[86:87]
	v_add_f64 v[8:9], v[84:85], -v[38:39]
	v_add_f64 v[46:47], v[40:41], -v[92:93]
	;; [unrolled: 1-line block ×3, first 2 shown]
	s_delay_alu instid0(VALU_DEP_4) | instskip(NEXT) | instid1(VALU_DEP_1)
	v_add_f64 v[0:1], v[0:1], v[88:89]
	v_add_f64 v[0:1], v[0:1], v[92:93]
	s_delay_alu instid0(VALU_DEP_1) | instskip(SKIP_1) | instid1(VALU_DEP_1)
	v_add_f64 v[34:35], v[0:1], v[40:41]
	v_add_f64 v[0:1], v[88:89], v[92:93]
	v_fma_f64 v[0:1], v[0:1], -0.5, v[10:11]
	s_delay_alu instid0(VALU_DEP_1) | instskip(SKIP_1) | instid1(VALU_DEP_2)
	v_fma_f64 v[38:39], v[8:9], s[12:13], v[0:1]
	v_fma_f64 v[0:1], v[8:9], s[8:9], v[0:1]
	;; [unrolled: 1-line block ×3, first 2 shown]
	v_add_f64 v[38:39], v[86:87], -v[88:89]
	s_delay_alu instid0(VALU_DEP_3) | instskip(NEXT) | instid1(VALU_DEP_2)
	v_fma_f64 v[0:1], v[44:45], s[0:1], v[0:1]
	v_add_f64 v[46:47], v[38:39], v[46:47]
	s_delay_alu instid0(VALU_DEP_1) | instskip(NEXT) | instid1(VALU_DEP_3)
	v_fma_f64 v[38:39], v[46:47], s[10:11], v[30:31]
	v_fma_f64 v[30:31], v[46:47], s[10:11], v[0:1]
	v_add_f64 v[0:1], v[86:87], v[40:41]
	v_add_f64 v[46:47], v[88:89], -v[86:87]
	v_add_f64 v[40:41], v[92:93], -v[40:41]
	;; [unrolled: 1-line block ×3, first 2 shown]
	s_delay_alu instid0(VALU_DEP_4) | instskip(NEXT) | instid1(VALU_DEP_3)
	v_fma_f64 v[0:1], v[0:1], -0.5, v[10:11]
	v_add_f64 v[40:41], v[46:47], v[40:41]
	v_add_f64 v[46:47], v[100:101], -v[104:105]
	s_delay_alu instid0(VALU_DEP_3) | instskip(SKIP_1) | instid1(VALU_DEP_2)
	v_fma_f64 v[10:11], v[44:45], s[8:9], v[0:1]
	v_fma_f64 v[0:1], v[44:45], s[12:13], v[0:1]
	;; [unrolled: 1-line block ×3, first 2 shown]
	s_delay_alu instid0(VALU_DEP_2) | instskip(SKIP_1) | instid1(VALU_DEP_3)
	v_fma_f64 v[0:1], v[8:9], s[0:1], v[0:1]
	v_add_f64 v[8:9], v[94:95], -v[106:107]
	v_fma_f64 v[58:59], v[40:41], s[10:11], v[10:11]
	s_delay_alu instid0(VALU_DEP_3)
	v_fma_f64 v[50:51], v[40:41], s[10:11], v[0:1]
	v_add_f64 v[0:1], v[60:61], v[42:43]
	v_add_f64 v[40:41], v[42:43], -v[96:97]
	ds_store_b128 v98, v[32:35]
	ds_store_b128 v98, v[36:39] offset:432
	ds_store_b128 v98, v[56:59] offset:864
	;; [unrolled: 1-line block ×4, first 2 shown]
	v_add_f64 v[0:1], v[0:1], v[96:97]
	v_add_f64 v[40:41], v[40:41], v[52:53]
	s_delay_alu instid0(VALU_DEP_2) | instskip(NEXT) | instid1(VALU_DEP_1)
	v_add_f64 v[0:1], v[0:1], v[102:103]
	v_add_f64 v[44:45], v[0:1], v[54:55]
	;; [unrolled: 1-line block ×3, first 2 shown]
	s_delay_alu instid0(VALU_DEP_1) | instskip(NEXT) | instid1(VALU_DEP_1)
	v_fma_f64 v[0:1], v[0:1], -0.5, v[60:61]
	v_fma_f64 v[10:11], v[8:9], s[8:9], v[0:1]
	v_fma_f64 v[0:1], v[8:9], s[12:13], v[0:1]
	s_delay_alu instid0(VALU_DEP_2) | instskip(NEXT) | instid1(VALU_DEP_2)
	v_fma_f64 v[10:11], v[46:47], s[0:1], v[10:11]
	v_fma_f64 v[0:1], v[46:47], s[14:15], v[0:1]
	s_delay_alu instid0(VALU_DEP_2) | instskip(NEXT) | instid1(VALU_DEP_2)
	v_fma_f64 v[52:53], v[40:41], s[10:11], v[10:11]
	v_fma_f64 v[40:41], v[40:41], s[10:11], v[0:1]
	v_add_f64 v[0:1], v[42:43], v[54:55]
	s_delay_alu instid0(VALU_DEP_1) | instskip(SKIP_1) | instid1(VALU_DEP_2)
	v_fma_f64 v[0:1], v[0:1], -0.5, v[60:61]
	v_add_f64 v[60:61], v[96:97], -v[42:43]
	v_fma_f64 v[10:11], v[46:47], s[12:13], v[0:1]
	v_fma_f64 v[0:1], v[46:47], s[8:9], v[0:1]
	s_delay_alu instid0(VALU_DEP_3) | instskip(NEXT) | instid1(VALU_DEP_3)
	v_add_f64 v[60:61], v[60:61], v[64:65]
	v_fma_f64 v[10:11], v[8:9], s[0:1], v[10:11]
	s_delay_alu instid0(VALU_DEP_3)
	v_fma_f64 v[0:1], v[8:9], s[14:15], v[0:1]
	v_add_f64 v[8:9], v[42:43], -v[54:55]
	v_add_f64 v[42:43], v[94:95], -v[100:101]
	;; [unrolled: 1-line block ×3, first 2 shown]
	v_fma_f64 v[64:65], v[60:61], s[10:11], v[10:11]
	v_fma_f64 v[60:61], v[60:61], s[10:11], v[0:1]
	v_add_f64 v[0:1], v[62:63], v[94:95]
	s_delay_alu instid0(VALU_DEP_4) | instskip(NEXT) | instid1(VALU_DEP_2)
	v_add_f64 v[42:43], v[42:43], v[54:55]
	v_add_f64 v[0:1], v[0:1], v[100:101]
	s_delay_alu instid0(VALU_DEP_1) | instskip(NEXT) | instid1(VALU_DEP_1)
	v_add_f64 v[0:1], v[0:1], v[104:105]
	v_add_f64 v[46:47], v[0:1], v[106:107]
	;; [unrolled: 1-line block ×3, first 2 shown]
	s_delay_alu instid0(VALU_DEP_1) | instskip(NEXT) | instid1(VALU_DEP_1)
	v_fma_f64 v[0:1], v[0:1], -0.5, v[62:63]
	v_fma_f64 v[10:11], v[8:9], s[12:13], v[0:1]
	v_fma_f64 v[0:1], v[8:9], s[8:9], v[0:1]
	s_delay_alu instid0(VALU_DEP_2) | instskip(NEXT) | instid1(VALU_DEP_2)
	v_fma_f64 v[10:11], v[68:69], s[14:15], v[10:11]
	v_fma_f64 v[0:1], v[68:69], s[0:1], v[0:1]
	s_delay_alu instid0(VALU_DEP_2) | instskip(NEXT) | instid1(VALU_DEP_2)
	v_fma_f64 v[54:55], v[42:43], s[10:11], v[10:11]
	v_fma_f64 v[42:43], v[42:43], s[10:11], v[0:1]
	v_add_f64 v[0:1], v[94:95], v[106:107]
	s_delay_alu instid0(VALU_DEP_1) | instskip(SKIP_1) | instid1(VALU_DEP_2)
	v_fma_f64 v[0:1], v[0:1], -0.5, v[62:63]
	v_add_f64 v[62:63], v[100:101], -v[94:95]
	v_fma_f64 v[10:11], v[68:69], s[8:9], v[0:1]
	v_fma_f64 v[0:1], v[68:69], s[12:13], v[0:1]
	s_delay_alu instid0(VALU_DEP_3) | instskip(NEXT) | instid1(VALU_DEP_3)
	v_add_f64 v[62:63], v[62:63], v[66:67]
	v_fma_f64 v[10:11], v[8:9], s[14:15], v[10:11]
	s_delay_alu instid0(VALU_DEP_3) | instskip(SKIP_1) | instid1(VALU_DEP_3)
	v_fma_f64 v[0:1], v[8:9], s[0:1], v[0:1]
	v_add_f64 v[8:9], v[110:111], -v[82:83]
	v_fma_f64 v[66:67], v[62:63], s[10:11], v[10:11]
	s_delay_alu instid0(VALU_DEP_3) | instskip(SKIP_1) | instid1(VALU_DEP_1)
	v_fma_f64 v[62:63], v[62:63], s[10:11], v[0:1]
	v_add_f64 v[0:1], v[76:77], v[108:109]
	v_add_f64 v[0:1], v[0:1], v[112:113]
	s_delay_alu instid0(VALU_DEP_1) | instskip(NEXT) | instid1(VALU_DEP_1)
	v_add_f64 v[0:1], v[0:1], v[2:3]
	v_add_f64 v[68:69], v[0:1], v[74:75]
	;; [unrolled: 1-line block ×3, first 2 shown]
	s_delay_alu instid0(VALU_DEP_1) | instskip(NEXT) | instid1(VALU_DEP_1)
	v_fma_f64 v[0:1], v[0:1], -0.5, v[76:77]
	v_fma_f64 v[10:11], v[8:9], s[8:9], v[0:1]
	v_fma_f64 v[0:1], v[8:9], s[12:13], v[0:1]
	s_delay_alu instid0(VALU_DEP_2) | instskip(NEXT) | instid1(VALU_DEP_2)
	v_fma_f64 v[10:11], v[70:71], s[0:1], v[10:11]
	v_fma_f64 v[0:1], v[70:71], s[14:15], v[0:1]
	s_delay_alu instid0(VALU_DEP_2) | instskip(SKIP_1) | instid1(VALU_DEP_3)
	v_fma_f64 v[72:73], v[80:81], s[10:11], v[10:11]
	v_add_f64 v[10:11], v[108:109], v[74:75]
	v_fma_f64 v[0:1], v[80:81], s[10:11], v[0:1]
	v_add_f64 v[80:81], v[112:113], -v[108:109]
	s_delay_alu instid0(VALU_DEP_3) | instskip(NEXT) | instid1(VALU_DEP_2)
	v_fma_f64 v[10:11], v[10:11], -0.5, v[76:77]
	v_add_f64 v[84:85], v[80:81], v[84:85]
	s_delay_alu instid0(VALU_DEP_2) | instskip(SKIP_1) | instid1(VALU_DEP_2)
	v_fma_f64 v[76:77], v[70:71], s[12:13], v[10:11]
	v_fma_f64 v[10:11], v[70:71], s[8:9], v[10:11]
	;; [unrolled: 1-line block ×3, first 2 shown]
	s_delay_alu instid0(VALU_DEP_2) | instskip(SKIP_1) | instid1(VALU_DEP_3)
	v_fma_f64 v[8:9], v[8:9], s[14:15], v[10:11]
	v_add_f64 v[10:11], v[108:109], -v[74:75]
	v_fma_f64 v[80:81], v[84:85], s[10:11], v[76:77]
	s_delay_alu instid0(VALU_DEP_3) | instskip(SKIP_2) | instid1(VALU_DEP_2)
	v_fma_f64 v[76:77], v[84:85], s[10:11], v[8:9]
	v_add_f64 v[8:9], v[78:79], v[110:111]
	v_add_f64 v[84:85], v[112:113], -v[2:3]
	v_add_f64 v[8:9], v[8:9], v[114:115]
	s_delay_alu instid0(VALU_DEP_1) | instskip(NEXT) | instid1(VALU_DEP_1)
	v_add_f64 v[8:9], v[8:9], v[116:117]
	v_add_f64 v[70:71], v[8:9], v[82:83]
	;; [unrolled: 1-line block ×3, first 2 shown]
	s_delay_alu instid0(VALU_DEP_1) | instskip(NEXT) | instid1(VALU_DEP_1)
	v_fma_f64 v[8:9], v[8:9], -0.5, v[78:79]
	v_fma_f64 v[74:75], v[10:11], s[12:13], v[8:9]
	s_delay_alu instid0(VALU_DEP_1) | instskip(SKIP_1) | instid1(VALU_DEP_1)
	v_fma_f64 v[2:3], v[84:85], s[14:15], v[74:75]
	v_add_f64 v[74:75], v[110:111], -v[114:115]
	v_add_f64 v[86:87], v[74:75], v[86:87]
	s_delay_alu instid0(VALU_DEP_1) | instskip(SKIP_3) | instid1(VALU_DEP_3)
	v_fma_f64 v[74:75], v[86:87], s[10:11], v[2:3]
	v_fma_f64 v[2:3], v[10:11], s[8:9], v[8:9]
	v_add_f64 v[8:9], v[110:111], v[82:83]
	v_add_f64 v[82:83], v[116:117], -v[82:83]
	v_fma_f64 v[2:3], v[84:85], s[0:1], v[2:3]
	s_delay_alu instid0(VALU_DEP_3) | instskip(NEXT) | instid1(VALU_DEP_2)
	v_fma_f64 v[8:9], v[8:9], -0.5, v[78:79]
	v_fma_f64 v[2:3], v[86:87], s[10:11], v[2:3]
	s_delay_alu instid0(VALU_DEP_2) | instskip(SKIP_2) | instid1(VALU_DEP_3)
	v_fma_f64 v[78:79], v[84:85], s[8:9], v[8:9]
	v_add_f64 v[86:87], v[114:115], -v[110:111]
	v_fma_f64 v[8:9], v[84:85], s[12:13], v[8:9]
	v_fma_f64 v[78:79], v[10:11], s[14:15], v[78:79]
	s_delay_alu instid0(VALU_DEP_3) | instskip(NEXT) | instid1(VALU_DEP_3)
	v_add_f64 v[86:87], v[86:87], v[82:83]
	v_fma_f64 v[8:9], v[10:11], s[0:1], v[8:9]
	s_delay_alu instid0(VALU_DEP_2) | instskip(NEXT) | instid1(VALU_DEP_2)
	v_fma_f64 v[82:83], v[86:87], s[10:11], v[78:79]
	v_fma_f64 v[78:79], v[86:87], s[10:11], v[8:9]
	scratch_load_b32 v8, off, off offset:416 ; 4-byte Folded Reload
	s_waitcnt vmcnt(0)
	ds_store_b128 v8, v[44:47]
	ds_store_b128 v8, v[52:55] offset:432
	ds_store_b128 v8, v[64:67] offset:864
	ds_store_b128 v8, v[60:63] offset:1296
	ds_store_b128 v8, v[40:43] offset:1728
	scratch_load_b32 v8, off, off offset:412 ; 4-byte Folded Reload
	s_waitcnt vmcnt(0)
	ds_store_b128 v8, v[68:71]
	ds_store_b128 v8, v[72:75] offset:432
	ds_store_b128 v8, v[80:83] offset:864
	;; [unrolled: 1-line block ×4, first 2 shown]
	s_waitcnt lgkmcnt(0)
	s_barrier
	buffer_gl0_inv
	ds_load_b128 v[32:35], v99
	ds_load_b128 v[56:59], v99 offset:2160
	ds_load_b128 v[52:55], v99 offset:4320
	;; [unrolled: 1-line block ×13, first 2 shown]
	s_and_saveexec_b32 s0, vcc_lo
	s_cbranch_execz .LBB0_7
; %bb.6:
	ds_load_b128 v[0:3], v99 offset:2016
	ds_load_b128 v[4:7], v99 offset:4176
	s_waitcnt lgkmcnt(0)
	scratch_store_b128 off, v[4:7], off offset:4 ; 16-byte Folded Spill
	ds_load_b128 v[4:7], v99 offset:6336
	ds_load_b128 v[12:15], v99 offset:8496
	;; [unrolled: 1-line block ×5, first 2 shown]
.LBB0_7:
	s_or_b32 exec_lo, exec_lo, s0
	s_clause 0x2
	scratch_load_b128 v[142:145], off, off offset:316
	scratch_load_b128 v[138:141], off, off offset:300
	;; [unrolled: 1-line block ×3, first 2 shown]
	s_waitcnt lgkmcnt(1)
	v_mul_f64 v[110:111], v[130:131], v[74:75]
	v_mul_f64 v[112:113], v[130:131], v[72:73]
	scratch_load_b128 v[130:133], off, off offset:268 ; 16-byte Folded Reload
	v_mul_f64 v[96:97], v[122:123], v[66:67]
	v_mul_f64 v[100:101], v[122:123], v[64:65]
	s_waitcnt lgkmcnt(0)
	v_mul_f64 v[106:107], v[126:127], v[78:79]
	v_mul_f64 v[108:109], v[126:127], v[76:77]
	s_mov_b32 s12, 0x37e14327
	s_mov_b32 s14, 0xe976ee23
	;; [unrolled: 1-line block ×20, first 2 shown]
	v_fma_f64 v[72:73], v[128:129], v[72:73], v[110:111]
	v_fma_f64 v[74:75], v[128:129], v[74:75], -v[112:113]
	v_fma_f64 v[64:65], v[120:121], v[64:65], v[96:97]
	v_fma_f64 v[66:67], v[120:121], v[66:67], -v[100:101]
	;; [unrolled: 2-line block ×3, first 2 shown]
	s_waitcnt vmcnt(3)
	v_mul_f64 v[80:81], v[144:145], v[58:59]
	v_mul_f64 v[82:83], v[144:145], v[56:57]
	scratch_load_b128 v[144:147], off, off offset:364 ; 16-byte Folded Reload
	s_waitcnt vmcnt(3)
	v_mul_f64 v[84:85], v[140:141], v[54:55]
	v_mul_f64 v[86:87], v[140:141], v[52:53]
	s_waitcnt vmcnt(2)
	v_mul_f64 v[114:115], v[136:137], v[38:39]
	v_mul_f64 v[116:117], v[136:137], v[36:37]
	s_waitcnt vmcnt(1)
	v_mul_f64 v[118:119], v[132:133], v[10:11]
	v_mul_f64 v[122:123], v[132:133], v[8:9]
	v_fma_f64 v[56:57], v[142:143], v[56:57], v[80:81]
	v_fma_f64 v[58:59], v[142:143], v[58:59], -v[82:83]
	scratch_load_b128 v[140:143], off, off offset:348 ; 16-byte Folded Reload
	v_fma_f64 v[52:53], v[138:139], v[52:53], v[84:85]
	v_fma_f64 v[54:55], v[138:139], v[54:55], -v[86:87]
	scratch_load_b128 v[136:139], off, off offset:332 ; 16-byte Folded Reload
	v_fma_f64 v[36:37], v[134:135], v[36:37], v[114:115]
	v_fma_f64 v[38:39], v[134:135], v[38:39], -v[116:117]
	v_fma_f64 v[8:9], v[130:131], v[8:9], v[118:119]
	v_fma_f64 v[10:11], v[130:131], v[10:11], -v[122:123]
	s_delay_alu instid0(VALU_DEP_2) | instskip(NEXT) | instid1(VALU_DEP_2)
	v_add_f64 v[96:97], v[36:37], v[8:9]
	v_add_f64 v[100:101], v[38:39], v[10:11]
	v_add_f64 v[8:9], v[8:9], -v[36:37]
	v_add_f64 v[10:11], v[10:11], -v[38:39]
	s_waitcnt vmcnt(2)
	v_mul_f64 v[88:89], v[146:147], v[62:63]
	v_mul_f64 v[90:91], v[146:147], v[60:61]
	scratch_load_b128 v[146:149], off, off offset:380 ; 16-byte Folded Reload
	v_fma_f64 v[60:61], v[144:145], v[60:61], v[88:89]
	v_fma_f64 v[62:63], v[144:145], v[62:63], -v[90:91]
	s_waitcnt vmcnt(2)
	v_mul_f64 v[80:81], v[142:143], v[42:43]
	v_mul_f64 v[82:83], v[142:143], v[40:41]
	s_waitcnt vmcnt(1)
	v_mul_f64 v[84:85], v[138:139], v[46:47]
	v_mul_f64 v[86:87], v[138:139], v[44:45]
	v_add_f64 v[88:89], v[56:57], v[60:61]
	v_add_f64 v[90:91], v[58:59], v[62:63]
	v_fma_f64 v[40:41], v[140:141], v[40:41], v[80:81]
	v_fma_f64 v[42:43], v[140:141], v[42:43], -v[82:83]
	v_fma_f64 v[44:45], v[136:137], v[44:45], v[84:85]
	v_fma_f64 v[46:47], v[136:137], v[46:47], -v[86:87]
	v_add_f64 v[80:81], v[64:65], v[76:77]
	v_add_f64 v[82:83], v[66:67], v[78:79]
	v_add_f64 v[36:37], v[56:57], -v[60:61]
	v_add_f64 v[38:39], v[58:59], -v[62:63]
	v_add_f64 v[60:61], v[40:41], v[44:45]
	v_add_f64 v[62:63], v[42:43], v[46:47]
	v_add_f64 v[40:41], v[44:45], -v[40:41]
	v_add_f64 v[42:43], v[46:47], -v[42:43]
	;; [unrolled: 1-line block ×4, first 2 shown]
	s_waitcnt vmcnt(0)
	v_mul_f64 v[92:93], v[148:149], v[50:51]
	v_mul_f64 v[94:95], v[148:149], v[48:49]
	scratch_load_b128 v[148:151], off, off offset:396 ; 16-byte Folded Reload
	v_fma_f64 v[48:49], v[146:147], v[48:49], v[92:93]
	v_fma_f64 v[50:51], v[146:147], v[50:51], -v[94:95]
	s_delay_alu instid0(VALU_DEP_2) | instskip(NEXT) | instid1(VALU_DEP_2)
	v_add_f64 v[92:93], v[52:53], v[48:49]
	v_add_f64 v[94:95], v[54:55], v[50:51]
	v_add_f64 v[48:49], v[52:53], -v[48:49]
	v_add_f64 v[50:51], v[54:55], -v[50:51]
	s_delay_alu instid0(VALU_DEP_4) | instskip(NEXT) | instid1(VALU_DEP_4)
	v_add_f64 v[52:53], v[92:93], v[88:89]
	v_add_f64 v[54:55], v[94:95], v[90:91]
	s_delay_alu instid0(VALU_DEP_4) | instskip(NEXT) | instid1(VALU_DEP_4)
	v_add_f64 v[76:77], v[8:9], -v[48:49]
	v_add_f64 v[78:79], v[10:11], -v[50:51]
	s_delay_alu instid0(VALU_DEP_4) | instskip(NEXT) | instid1(VALU_DEP_4)
	v_add_f64 v[52:53], v[96:97], v[52:53]
	v_add_f64 v[54:55], v[100:101], v[54:55]
	s_delay_alu instid0(VALU_DEP_4) | instskip(NEXT) | instid1(VALU_DEP_4)
	v_mul_f64 v[76:77], v[76:77], s[14:15]
	v_mul_f64 v[78:79], v[78:79], s[14:15]
	s_waitcnt vmcnt(0)
	v_mul_f64 v[102:103], v[150:151], v[70:71]
	v_mul_f64 v[104:105], v[150:151], v[68:69]
	s_delay_alu instid0(VALU_DEP_2) | instskip(NEXT) | instid1(VALU_DEP_2)
	v_fma_f64 v[68:69], v[148:149], v[68:69], v[102:103]
	v_fma_f64 v[70:71], v[148:149], v[70:71], -v[104:105]
	v_add_f64 v[102:103], v[48:49], -v[36:37]
	v_add_f64 v[104:105], v[50:51], -v[38:39]
	v_add_f64 v[48:49], v[8:9], v[48:49]
	v_add_f64 v[50:51], v[10:11], v[50:51]
	;; [unrolled: 1-line block ×4, first 2 shown]
	v_add_f64 v[56:57], v[68:69], -v[72:73]
	v_add_f64 v[58:59], v[70:71], -v[74:75]
	;; [unrolled: 1-line block ×12, first 2 shown]
	v_mul_f64 v[118:119], v[102:103], s[0:1]
	v_mul_f64 v[120:121], v[104:105], s[0:1]
	v_add_f64 v[8:9], v[32:33], v[52:53]
	v_add_f64 v[10:11], v[34:35], v[54:55]
	v_add_f64 v[32:33], v[44:45], -v[40:41]
	v_add_f64 v[34:35], v[46:47], -v[42:43]
	v_add_f64 v[36:37], v[48:49], v[36:37]
	v_add_f64 v[38:39], v[50:51], v[38:39]
	;; [unrolled: 1-line block ×4, first 2 shown]
	v_add_f64 v[106:107], v[40:41], -v[56:57]
	v_add_f64 v[108:109], v[42:43], -v[58:59]
	;; [unrolled: 1-line block ×4, first 2 shown]
	v_mul_f64 v[68:69], v[68:69], s[12:13]
	v_mul_f64 v[70:71], v[70:71], s[12:13]
	v_add_f64 v[56:57], v[40:41], v[56:57]
	v_add_f64 v[58:59], v[42:43], v[58:59]
	v_mul_f64 v[114:115], v[72:73], s[8:9]
	v_mul_f64 v[116:117], v[74:75], s[8:9]
	;; [unrolled: 1-line block ×4, first 2 shown]
	v_add_f64 v[80:81], v[84:85], -v[80:81]
	v_add_f64 v[82:83], v[86:87], -v[82:83]
	v_fma_f64 v[52:53], v[52:53], s[10:11], v[8:9]
	v_fma_f64 v[54:55], v[54:55], s[10:11], v[10:11]
	v_add_f64 v[64:65], v[60:61], v[64:65]
	v_add_f64 v[66:67], v[62:63], v[66:67]
	v_add_f64 v[60:61], v[60:61], -v[84:85]
	v_add_f64 v[62:63], v[62:63], -v[86:87]
	v_mul_f64 v[96:97], v[106:107], s[14:15]
	v_mul_f64 v[100:101], v[108:109], s[14:15]
	;; [unrolled: 1-line block ×4, first 2 shown]
	v_fma_f64 v[48:49], v[72:73], s[8:9], v[68:69]
	v_fma_f64 v[50:51], v[74:75], s[8:9], v[70:71]
	;; [unrolled: 1-line block ×4, first 2 shown]
	v_fma_f64 v[92:93], v[92:93], s[22:23], -v[118:119]
	v_fma_f64 v[94:95], v[94:95], s[22:23], -v[120:121]
	v_add_f64 v[44:45], v[56:57], v[44:45]
	v_add_f64 v[46:47], v[58:59], v[46:47]
	v_fma_f64 v[56:57], v[88:89], s[16:17], -v[114:115]
	v_fma_f64 v[58:59], v[90:91], s[16:17], -v[116:117]
	;; [unrolled: 1-line block ×6, first 2 shown]
	v_add_f64 v[28:29], v[28:29], v[64:65]
	v_add_f64 v[30:31], v[30:31], v[66:67]
	v_mul_f64 v[84:85], v[60:61], s[8:9]
	v_mul_f64 v[86:87], v[62:63], s[8:9]
	v_fma_f64 v[60:61], v[60:61], s[8:9], v[40:41]
	v_fma_f64 v[62:63], v[62:63], s[8:9], v[42:43]
	;; [unrolled: 1-line block ×4, first 2 shown]
	v_fma_f64 v[96:97], v[110:111], s[0:1], -v[96:97]
	v_fma_f64 v[100:101], v[112:113], s[0:1], -v[100:101]
	;; [unrolled: 1-line block ×6, first 2 shown]
	v_fma_f64 v[72:73], v[36:37], s[24:25], v[72:73]
	v_fma_f64 v[74:75], v[38:39], s[24:25], v[74:75]
	;; [unrolled: 1-line block ×6, first 2 shown]
	v_fma_f64 v[80:81], v[80:81], s[16:17], -v[84:85]
	v_fma_f64 v[82:83], v[82:83], s[16:17], -v[86:87]
	v_fma_f64 v[84:85], v[36:37], s[24:25], v[92:93]
	v_fma_f64 v[86:87], v[38:39], s[24:25], v[94:95]
	v_add_f64 v[92:93], v[48:49], v[52:53]
	v_add_f64 v[94:95], v[50:51], v[54:55]
	v_fma_f64 v[88:89], v[44:45], s[24:25], v[88:89]
	v_fma_f64 v[90:91], v[46:47], s[24:25], v[90:91]
	v_add_f64 v[48:49], v[68:69], v[52:53]
	v_add_f64 v[50:51], v[70:71], v[54:55]
	v_fma_f64 v[70:71], v[44:45], s[24:25], v[96:97]
	v_fma_f64 v[68:69], v[46:47], s[24:25], v[100:101]
	;; [unrolled: 1-line block ×4, first 2 shown]
	v_add_f64 v[52:53], v[56:57], v[52:53]
	v_add_f64 v[54:55], v[58:59], v[54:55]
	;; [unrolled: 1-line block ×9, first 2 shown]
	v_add_f64 v[34:35], v[94:95], -v[72:73]
	v_add_f64 v[36:37], v[86:87], v[48:49]
	v_add_f64 v[38:39], v[50:51], -v[84:85]
	v_add_f64 v[48:49], v[48:49], -v[86:87]
	v_add_f64 v[50:51], v[84:85], v[50:51]
	v_add_f64 v[40:41], v[52:53], -v[78:79]
	v_add_f64 v[42:43], v[76:77], v[54:55]
	v_add_f64 v[44:45], v[78:79], v[52:53]
	v_add_f64 v[46:47], v[54:55], -v[76:77]
	v_add_f64 v[52:53], v[92:93], -v[74:75]
	v_add_f64 v[54:55], v[72:73], v[94:95]
	v_add_f64 v[56:57], v[90:91], v[102:103]
	v_add_f64 v[58:59], v[104:105], -v[88:89]
	v_add_f64 v[60:61], v[100:101], v[106:107]
	v_add_f64 v[62:63], v[108:109], -v[96:97]
	v_add_f64 v[64:65], v[80:81], -v[68:69]
	v_add_f64 v[66:67], v[70:71], v[82:83]
	v_add_f64 v[68:69], v[68:69], v[80:81]
	v_add_f64 v[70:71], v[82:83], -v[70:71]
	v_add_f64 v[72:73], v[106:107], -v[100:101]
	v_add_f64 v[74:75], v[96:97], v[108:109]
	v_add_f64 v[76:77], v[102:103], -v[90:91]
	v_add_f64 v[78:79], v[88:89], v[104:105]
	ds_store_b128 v99, v[8:11]
	ds_store_b128 v99, v[28:31] offset:1008
	ds_store_b128 v99, v[32:35] offset:2160
	;; [unrolled: 1-line block ×13, first 2 shown]
	s_and_saveexec_b32 s26, vcc_lo
	s_cbranch_execz .LBB0_9
; %bb.8:
	s_clause 0x6
	scratch_load_b128 v[64:67], off, off offset:544
	scratch_load_b128 v[60:63], off, off offset:528
	scratch_load_b128 v[72:75], off, off offset:4
	scratch_load_b128 v[68:71], off, off offset:560
	scratch_load_b128 v[56:59], off, off offset:512
	scratch_load_b128 v[48:51], off, off offset:480
	scratch_load_b128 v[52:55], off, off offset:496
	s_waitcnt vmcnt(6)
	v_mul_f64 v[8:9], v[66:67], v[24:25]
	s_waitcnt vmcnt(4)
	v_mul_f64 v[10:11], v[62:63], v[72:73]
	;; [unrolled: 2-line block ×4, first 2 shown]
	v_mul_f64 v[32:33], v[62:63], v[74:75]
	v_mul_f64 v[34:35], v[66:67], v[26:27]
	;; [unrolled: 1-line block ×4, first 2 shown]
	s_waitcnt vmcnt(1)
	v_mul_f64 v[40:41], v[50:51], v[18:19]
	s_waitcnt vmcnt(0)
	v_mul_f64 v[42:43], v[54:55], v[14:15]
	v_mul_f64 v[44:45], v[54:55], v[12:13]
	;; [unrolled: 1-line block ×3, first 2 shown]
	v_fma_f64 v[8:9], v[64:65], v[26:27], -v[8:9]
	v_fma_f64 v[10:11], v[60:61], v[74:75], -v[10:11]
	;; [unrolled: 1-line block ×4, first 2 shown]
	v_fma_f64 v[26:27], v[60:61], v[72:73], v[32:33]
	v_fma_f64 v[24:25], v[64:65], v[24:25], v[34:35]
	;; [unrolled: 1-line block ×6, first 2 shown]
	v_fma_f64 v[14:15], v[52:53], v[14:15], -v[44:45]
	v_fma_f64 v[18:19], v[48:49], v[18:19], -v[46:47]
	v_add_f64 v[28:29], v[10:11], v[8:9]
	v_add_f64 v[8:9], v[10:11], -v[8:9]
	v_add_f64 v[30:31], v[6:7], v[22:23]
	v_add_f64 v[6:7], v[6:7], -v[22:23]
	v_add_f64 v[32:33], v[26:27], v[24:25]
	v_add_f64 v[34:35], v[4:5], v[20:21]
	v_add_f64 v[4:5], v[4:5], -v[20:21]
	v_add_f64 v[36:37], v[16:17], -v[12:13]
	v_add_f64 v[12:13], v[12:13], v[16:17]
	v_add_f64 v[20:21], v[14:15], v[18:19]
	v_add_f64 v[16:17], v[26:27], -v[24:25]
	v_add_f64 v[14:15], v[18:19], -v[14:15]
	v_add_f64 v[24:25], v[30:31], v[28:29]
	v_add_f64 v[42:43], v[6:7], -v[8:9]
	v_add_f64 v[10:11], v[34:35], v[32:33]
	v_add_f64 v[18:19], v[36:37], -v[4:5]
	v_add_f64 v[26:27], v[32:33], -v[12:13]
	;; [unrolled: 1-line block ×6, first 2 shown]
	v_add_f64 v[4:5], v[36:37], v[4:5]
	v_add_f64 v[6:7], v[14:15], v[6:7]
	v_add_f64 v[14:15], v[8:9], -v[14:15]
	v_add_f64 v[28:29], v[30:31], -v[28:29]
	v_add_f64 v[32:33], v[34:35], -v[32:33]
	v_add_f64 v[24:25], v[20:21], v[24:25]
	v_add_f64 v[20:21], v[20:21], -v[30:31]
	v_mul_f64 v[46:47], v[42:43], s[0:1]
	v_add_f64 v[10:11], v[12:13], v[10:11]
	v_add_f64 v[12:13], v[12:13], -v[34:35]
	v_mul_f64 v[18:19], v[18:19], s[14:15]
	v_mul_f64 v[26:27], v[26:27], s[12:13]
	;; [unrolled: 1-line block ×5, first 2 shown]
	v_add_f64 v[4:5], v[4:5], v[16:17]
	v_add_f64 v[6:7], v[6:7], v[8:9]
	v_add_f64 v[2:3], v[2:3], v[24:25]
	v_mul_f64 v[30:31], v[20:21], s[8:9]
	v_add_f64 v[0:1], v[0:1], v[10:11]
	v_mul_f64 v[34:35], v[12:13], s[8:9]
	v_fma_f64 v[8:9], v[44:45], s[20:21], v[18:19]
	v_fma_f64 v[12:13], v[12:13], s[8:9], v[26:27]
	;; [unrolled: 1-line block ×3, first 2 shown]
	v_fma_f64 v[20:21], v[44:45], s[22:23], -v[36:37]
	v_fma_f64 v[18:19], v[38:39], s[0:1], -v[18:19]
	v_fma_f64 v[22:23], v[28:29], s[18:19], -v[22:23]
	v_fma_f64 v[36:37], v[42:43], s[0:1], -v[40:41]
	v_fma_f64 v[26:27], v[32:33], s[18:19], -v[26:27]
	v_fma_f64 v[24:25], v[24:25], s[10:11], v[2:3]
	v_fma_f64 v[28:29], v[28:29], s[16:17], -v[30:31]
	v_fma_f64 v[30:31], v[14:15], s[20:21], v[40:41]
	v_fma_f64 v[14:15], v[14:15], s[22:23], -v[46:47]
	v_fma_f64 v[10:11], v[10:11], s[10:11], v[0:1]
	v_fma_f64 v[32:33], v[32:33], s[16:17], -v[34:35]
	v_fma_f64 v[8:9], v[4:5], s[24:25], v[8:9]
	v_fma_f64 v[20:21], v[4:5], s[24:25], v[20:21]
	;; [unrolled: 1-line block ×4, first 2 shown]
	v_add_f64 v[16:17], v[16:17], v[24:25]
	v_add_f64 v[18:19], v[28:29], v[24:25]
	v_fma_f64 v[28:29], v[6:7], s[24:25], v[30:31]
	v_add_f64 v[22:23], v[22:23], v[24:25]
	v_add_f64 v[36:37], v[12:13], v[10:11]
	v_fma_f64 v[30:31], v[6:7], s[24:25], v[14:15]
	v_add_f64 v[38:39], v[26:27], v[10:11]
	v_add_f64 v[12:13], v[32:33], v[10:11]
	v_add_f64 v[26:27], v[16:17], -v[8:9]
	v_add_f64 v[6:7], v[8:9], v[16:17]
	v_add_f64 v[14:15], v[18:19], -v[4:5]
	v_add_f64 v[10:11], v[20:21], v[22:23]
	v_add_f64 v[24:25], v[28:29], v[36:37]
	v_add_f64 v[22:23], v[22:23], -v[20:21]
	v_add_f64 v[20:21], v[30:31], v[38:39]
	v_add_f64 v[18:19], v[4:5], v[18:19]
	v_add_f64 v[16:17], v[12:13], -v[34:35]
	v_add_f64 v[12:13], v[34:35], v[12:13]
	v_add_f64 v[8:9], v[38:39], -v[30:31]
	v_add_f64 v[4:5], v[36:37], -v[28:29]
	ds_store_b128 v99, v[0:3] offset:2016
	ds_store_b128 v99, v[24:27] offset:4176
	;; [unrolled: 1-line block ×7, first 2 shown]
.LBB0_9:
	s_or_b32 exec_lo, exec_lo, s26
	s_waitcnt lgkmcnt(0)
	s_waitcnt_vscnt null, 0x0
	s_barrier
	buffer_gl0_inv
	ds_load_b128 v[0:3], v99
	ds_load_b128 v[4:7], v99 offset:5040
	ds_load_b128 v[8:11], v99 offset:10080
	;; [unrolled: 1-line block ×3, first 2 shown]
	scratch_load_b64 v[16:17], off, off offset:20 ; 8-byte Folded Reload
	s_mov_b32 s0, 0xbc011567
	s_mov_b32 s1, 0x3f51566a
	s_mul_hi_u32 s8, s4, 0x13b0
	s_mul_i32 s9, s4, 0x13b0
	s_mul_hi_u32 s11, s4, 0xffffdc90
	s_mul_i32 s10, s5, 0xffffdc90
	s_mul_i32 s12, s4, 0xffffdc90
	s_waitcnt vmcnt(0)
	v_mov_b32_e32 v82, v16
	ds_load_b128 v[16:19], v99 offset:11088
	ds_load_b128 v[20:23], v99 offset:4032
	s_clause 0x1
	scratch_load_b128 v[84:87], off, off offset:28
	scratch_load_b32 v83, off, off
	v_mad_u64_u32 v[60:61], null, s6, v82, 0
	s_mul_i32 s6, s5, 0x13b0
	s_delay_alu instid0(SALU_CYCLE_1)
	s_add_i32 s8, s8, s6
	s_waitcnt vmcnt(1) lgkmcnt(5)
	v_mul_f64 v[62:63], v[86:87], v[2:3]
	v_mul_f64 v[64:65], v[86:87], v[0:1]
	scratch_load_b128 v[86:89], off, off offset:44 ; 16-byte Folded Reload
	s_waitcnt vmcnt(1)
	v_mad_u64_u32 v[78:79], null, s4, v83, 0
	s_sub_i32 s4, s11, s4
	s_delay_alu instid0(SALU_CYCLE_1) | instskip(SKIP_3) | instid1(VALU_DEP_3)
	s_add_i32 s4, s4, s10
	v_mad_u64_u32 v[80:81], null, s7, v82, v[61:62]
	v_fma_f64 v[0:1], v[84:85], v[0:1], v[62:63]
	v_fma_f64 v[2:3], v[84:85], v[2:3], -v[64:65]
	v_mad_u64_u32 v[81:82], null, s5, v83, v[79:80]
	v_mov_b32_e32 v61, v80
	s_delay_alu instid0(VALU_DEP_1) | instskip(NEXT) | instid1(VALU_DEP_3)
	v_lshlrev_b64 v[60:61], 4, v[60:61]
	v_mov_b32_e32 v79, v81
	s_delay_alu instid0(VALU_DEP_1) | instskip(NEXT) | instid1(VALU_DEP_3)
	v_lshlrev_b64 v[78:79], 4, v[78:79]
	v_add_co_u32 v60, vcc_lo, s2, v60
	s_delay_alu instid0(VALU_DEP_4) | instskip(NEXT) | instid1(VALU_DEP_2)
	v_add_co_ci_u32_e32 v61, vcc_lo, s3, v61, vcc_lo
	v_add_co_u32 v60, vcc_lo, v60, v78
	s_delay_alu instid0(VALU_DEP_2)
	v_add_co_ci_u32_e32 v61, vcc_lo, v61, v79, vcc_lo
	v_mul_f64 v[0:1], v[0:1], s[0:1]
	v_mul_f64 v[2:3], v[2:3], s[0:1]
	s_waitcnt vmcnt(0) lgkmcnt(4)
	v_mul_f64 v[66:67], v[88:89], v[6:7]
	v_mul_f64 v[68:69], v[88:89], v[4:5]
	scratch_load_b128 v[88:91], off, off offset:172 ; 16-byte Folded Reload
	v_fma_f64 v[4:5], v[86:87], v[4:5], v[66:67]
	v_fma_f64 v[6:7], v[86:87], v[6:7], -v[68:69]
	s_delay_alu instid0(VALU_DEP_2) | instskip(NEXT) | instid1(VALU_DEP_2)
	v_mul_f64 v[4:5], v[4:5], s[0:1]
	v_mul_f64 v[6:7], v[6:7], s[0:1]
	s_waitcnt vmcnt(0) lgkmcnt(3)
	v_mul_f64 v[70:71], v[90:91], v[10:11]
	v_mul_f64 v[72:73], v[90:91], v[8:9]
	scratch_load_b128 v[90:93], off, off offset:204 ; 16-byte Folded Reload
	ds_load_b128 v[24:27], v99 offset:6048
	ds_load_b128 v[28:31], v99 offset:7056
	;; [unrolled: 1-line block ×9, first 2 shown]
	scratch_load_b128 v[108:111], off, off offset:60 ; 16-byte Folded Reload
	v_fma_f64 v[8:9], v[88:89], v[8:9], v[70:71]
	v_fma_f64 v[10:11], v[88:89], v[10:11], -v[72:73]
	s_delay_alu instid0(VALU_DEP_2) | instskip(NEXT) | instid1(VALU_DEP_2)
	v_mul_f64 v[8:9], v[8:9], s[0:1]
	v_mul_f64 v[10:11], v[10:11], s[0:1]
	s_waitcnt vmcnt(1) lgkmcnt(11)
	v_mul_f64 v[74:75], v[92:93], v[14:15]
	v_mul_f64 v[76:77], v[92:93], v[12:13]
	s_waitcnt vmcnt(0) lgkmcnt(8)
	v_mul_f64 v[62:63], v[110:111], v[26:27]
	v_mul_f64 v[64:65], v[110:111], v[24:25]
	scratch_load_b128 v[110:113], off, off offset:76 ; 16-byte Folded Reload
	v_fma_f64 v[12:13], v[90:91], v[12:13], v[74:75]
	v_fma_f64 v[14:15], v[90:91], v[14:15], -v[76:77]
	v_fma_f64 v[24:25], v[108:109], v[24:25], v[62:63]
	v_fma_f64 v[26:27], v[108:109], v[26:27], -v[64:65]
	v_add_co_u32 v62, vcc_lo, v60, s9
	v_add_co_ci_u32_e32 v63, vcc_lo, s8, v61, vcc_lo
	s_delay_alu instid0(VALU_DEP_2) | instskip(NEXT) | instid1(VALU_DEP_2)
	v_add_co_u32 v64, vcc_lo, v62, s9
	v_add_co_ci_u32_e32 v65, vcc_lo, s8, v63, vcc_lo
	v_mul_f64 v[12:13], v[12:13], s[0:1]
	v_mul_f64 v[14:15], v[14:15], s[0:1]
	s_waitcnt vmcnt(0)
	v_mul_f64 v[66:67], v[112:113], v[18:19]
	v_mul_f64 v[68:69], v[112:113], v[16:17]
	scratch_load_b128 v[112:115], off, off offset:92 ; 16-byte Folded Reload
	v_fma_f64 v[16:17], v[110:111], v[16:17], v[66:67]
	v_fma_f64 v[18:19], v[110:111], v[18:19], -v[68:69]
	v_add_co_u32 v66, vcc_lo, v64, s12
	v_add_co_ci_u32_e32 v67, vcc_lo, s4, v65, vcc_lo
	s_waitcnt vmcnt(0) lgkmcnt(6)
	v_mul_f64 v[70:71], v[114:115], v[34:35]
	v_mul_f64 v[72:73], v[114:115], v[32:33]
	scratch_load_b128 v[114:117], off, off offset:108 ; 16-byte Folded Reload
	v_fma_f64 v[32:33], v[112:113], v[32:33], v[70:71]
	v_fma_f64 v[34:35], v[112:113], v[34:35], -v[72:73]
	s_waitcnt vmcnt(0)
	v_mul_f64 v[74:75], v[116:117], v[30:31]
	v_mul_f64 v[76:77], v[116:117], v[28:29]
	scratch_load_b128 v[116:119], off, off offset:124 ; 16-byte Folded Reload
	v_fma_f64 v[28:29], v[114:115], v[28:29], v[74:75]
	v_fma_f64 v[30:31], v[114:115], v[30:31], -v[76:77]
	s_waitcnt vmcnt(0) lgkmcnt(4)
	v_mul_f64 v[82:83], v[118:119], v[42:43]
	v_mul_f64 v[84:85], v[118:119], v[40:41]
	scratch_load_b128 v[118:121], off, off offset:140 ; 16-byte Folded Reload
	v_fma_f64 v[40:41], v[116:117], v[40:41], v[82:83]
	v_fma_f64 v[42:43], v[116:117], v[42:43], -v[84:85]
	s_waitcnt vmcnt(0)
	v_mul_f64 v[86:87], v[120:121], v[38:39]
	v_mul_f64 v[88:89], v[120:121], v[36:37]
	scratch_load_b128 v[120:123], off, off offset:156 ; 16-byte Folded Reload
	v_fma_f64 v[36:37], v[118:119], v[36:37], v[86:87]
	v_fma_f64 v[38:39], v[118:119], v[38:39], -v[88:89]
	;; [unrolled: 12-line block ×3, first 2 shown]
	s_waitcnt vmcnt(0)
	v_mul_f64 v[98:99], v[126:127], v[22:23]
	v_mul_f64 v[100:101], v[126:127], v[20:21]
	scratch_load_b128 v[126:129], off, off offset:236 ; 16-byte Folded Reload
	v_fma_f64 v[68:69], v[124:125], v[20:21], v[98:99]
	v_fma_f64 v[70:71], v[124:125], v[22:23], -v[100:101]
	v_mul_f64 v[20:21], v[36:37], s[0:1]
	v_mul_f64 v[22:23], v[38:39], s[0:1]
	s_waitcnt vmcnt(0) lgkmcnt(1)
	v_mul_f64 v[102:103], v[128:129], v[54:55]
	v_mul_f64 v[80:81], v[128:129], v[52:53]
	scratch_load_b128 v[128:131], off, off offset:252 ; 16-byte Folded Reload
	s_clause 0x3
	global_store_b128 v[60:61], v[0:3], off
	global_store_b128 v[62:63], v[4:7], off
	;; [unrolled: 1-line block ×4, first 2 shown]
	v_mul_f64 v[0:1], v[24:25], s[0:1]
	v_mul_f64 v[2:3], v[26:27], s[0:1]
	;; [unrolled: 1-line block ×4, first 2 shown]
	v_add_co_u32 v60, vcc_lo, v66, s9
	v_add_co_ci_u32_e32 v61, vcc_lo, s8, v67, vcc_lo
	v_mul_f64 v[8:9], v[32:33], s[0:1]
	s_delay_alu instid0(VALU_DEP_3) | instskip(NEXT) | instid1(VALU_DEP_3)
	v_add_co_u32 v62, vcc_lo, v60, s9
	v_add_co_ci_u32_e32 v63, vcc_lo, s8, v61, vcc_lo
	v_mul_f64 v[10:11], v[34:35], s[0:1]
	s_delay_alu instid0(VALU_DEP_3) | instskip(NEXT) | instid1(VALU_DEP_3)
	v_add_co_u32 v64, vcc_lo, v62, s12
	v_add_co_ci_u32_e32 v65, vcc_lo, s4, v63, vcc_lo
	v_mul_f64 v[12:13], v[28:29], s[0:1]
	v_mul_f64 v[14:15], v[30:31], s[0:1]
	;; [unrolled: 1-line block ×4, first 2 shown]
	v_add_co_u32 v66, vcc_lo, v64, s9
	v_mul_f64 v[24:25], v[48:49], s[0:1]
	v_mul_f64 v[26:27], v[50:51], s[0:1]
	v_mul_f64 v[28:29], v[44:45], s[0:1]
	v_mul_f64 v[30:31], v[46:47], s[0:1]
	v_add_co_ci_u32_e32 v67, vcc_lo, s8, v65, vcc_lo
	v_mul_f64 v[32:33], v[68:69], s[0:1]
	v_mul_f64 v[34:35], v[70:71], s[0:1]
	v_add_co_u32 v44, vcc_lo, v66, s9
	v_fma_f64 v[52:53], v[126:127], v[52:53], v[102:103]
	v_fma_f64 v[54:55], v[126:127], v[54:55], -v[80:81]
	v_add_co_ci_u32_e32 v45, vcc_lo, s8, v67, vcc_lo
	global_store_b128 v[60:61], v[0:3], off
	v_add_co_u32 v0, vcc_lo, v44, s12
	v_add_co_ci_u32_e32 v1, vcc_lo, s4, v45, vcc_lo
	global_store_b128 v[62:63], v[4:7], off
	v_add_co_u32 v2, vcc_lo, v0, s9
	v_add_co_ci_u32_e32 v3, vcc_lo, s8, v1, vcc_lo
	s_delay_alu instid0(VALU_DEP_2) | instskip(NEXT) | instid1(VALU_DEP_2)
	v_add_co_u32 v4, vcc_lo, v2, s9
	v_add_co_ci_u32_e32 v5, vcc_lo, s8, v3, vcc_lo
	global_store_b128 v[64:65], v[8:11], off
	v_add_co_u32 v6, vcc_lo, v4, s12
	v_add_co_ci_u32_e32 v7, vcc_lo, s4, v5, vcc_lo
	global_store_b128 v[66:67], v[12:15], off
	;; [unrolled: 3-line block ×3, first 2 shown]
	global_store_b128 v[0:1], v[20:23], off
	v_add_co_u32 v0, vcc_lo, v8, s9
	v_add_co_ci_u32_e32 v1, vcc_lo, s8, v9, vcc_lo
	v_mul_f64 v[36:37], v[52:53], s[0:1]
	v_mul_f64 v[38:39], v[54:55], s[0:1]
	s_waitcnt vmcnt(0) lgkmcnt(0)
	v_mul_f64 v[104:105], v[130:131], v[58:59]
	v_mul_f64 v[106:107], v[130:131], v[56:57]
	s_delay_alu instid0(VALU_DEP_2) | instskip(NEXT) | instid1(VALU_DEP_2)
	v_fma_f64 v[56:57], v[128:129], v[56:57], v[104:105]
	v_fma_f64 v[58:59], v[128:129], v[58:59], -v[106:107]
	s_delay_alu instid0(VALU_DEP_2) | instskip(NEXT) | instid1(VALU_DEP_2)
	v_mul_f64 v[40:41], v[56:57], s[0:1]
	v_mul_f64 v[42:43], v[58:59], s[0:1]
	global_store_b128 v[2:3], v[24:27], off
	global_store_b128 v[4:5], v[28:31], off
	;; [unrolled: 1-line block ×5, first 2 shown]
.LBB0_10:
	s_nop 0
	s_sendmsg sendmsg(MSG_DEALLOC_VGPRS)
	s_endpgm
	.section	.rodata,"a",@progbits
	.p2align	6, 0x0
	.amdhsa_kernel bluestein_single_fwd_len945_dim1_dp_op_CI_CI
		.amdhsa_group_segment_fixed_size 15120
		.amdhsa_private_segment_fixed_size 580
		.amdhsa_kernarg_size 104
		.amdhsa_user_sgpr_count 15
		.amdhsa_user_sgpr_dispatch_ptr 0
		.amdhsa_user_sgpr_queue_ptr 0
		.amdhsa_user_sgpr_kernarg_segment_ptr 1
		.amdhsa_user_sgpr_dispatch_id 0
		.amdhsa_user_sgpr_private_segment_size 0
		.amdhsa_wavefront_size32 1
		.amdhsa_uses_dynamic_stack 0
		.amdhsa_enable_private_segment 1
		.amdhsa_system_sgpr_workgroup_id_x 1
		.amdhsa_system_sgpr_workgroup_id_y 0
		.amdhsa_system_sgpr_workgroup_id_z 0
		.amdhsa_system_sgpr_workgroup_info 0
		.amdhsa_system_vgpr_workitem_id 0
		.amdhsa_next_free_vgpr 256
		.amdhsa_next_free_sgpr 28
		.amdhsa_reserve_vcc 1
		.amdhsa_float_round_mode_32 0
		.amdhsa_float_round_mode_16_64 0
		.amdhsa_float_denorm_mode_32 3
		.amdhsa_float_denorm_mode_16_64 3
		.amdhsa_dx10_clamp 1
		.amdhsa_ieee_mode 1
		.amdhsa_fp16_overflow 0
		.amdhsa_workgroup_processor_mode 1
		.amdhsa_memory_ordered 1
		.amdhsa_forward_progress 0
		.amdhsa_shared_vgpr_count 0
		.amdhsa_exception_fp_ieee_invalid_op 0
		.amdhsa_exception_fp_denorm_src 0
		.amdhsa_exception_fp_ieee_div_zero 0
		.amdhsa_exception_fp_ieee_overflow 0
		.amdhsa_exception_fp_ieee_underflow 0
		.amdhsa_exception_fp_ieee_inexact 0
		.amdhsa_exception_int_div_zero 0
	.end_amdhsa_kernel
	.text
.Lfunc_end0:
	.size	bluestein_single_fwd_len945_dim1_dp_op_CI_CI, .Lfunc_end0-bluestein_single_fwd_len945_dim1_dp_op_CI_CI
                                        ; -- End function
	.section	.AMDGPU.csdata,"",@progbits
; Kernel info:
; codeLenInByte = 24652
; NumSgprs: 30
; NumVgprs: 256
; ScratchSize: 580
; MemoryBound: 0
; FloatMode: 240
; IeeeMode: 1
; LDSByteSize: 15120 bytes/workgroup (compile time only)
; SGPRBlocks: 3
; VGPRBlocks: 31
; NumSGPRsForWavesPerEU: 30
; NumVGPRsForWavesPerEU: 256
; Occupancy: 4
; WaveLimiterHint : 1
; COMPUTE_PGM_RSRC2:SCRATCH_EN: 1
; COMPUTE_PGM_RSRC2:USER_SGPR: 15
; COMPUTE_PGM_RSRC2:TRAP_HANDLER: 0
; COMPUTE_PGM_RSRC2:TGID_X_EN: 1
; COMPUTE_PGM_RSRC2:TGID_Y_EN: 0
; COMPUTE_PGM_RSRC2:TGID_Z_EN: 0
; COMPUTE_PGM_RSRC2:TIDIG_COMP_CNT: 0
	.text
	.p2alignl 7, 3214868480
	.fill 96, 4, 3214868480
	.type	__hip_cuid_1c9ca27bccfab107,@object ; @__hip_cuid_1c9ca27bccfab107
	.section	.bss,"aw",@nobits
	.globl	__hip_cuid_1c9ca27bccfab107
__hip_cuid_1c9ca27bccfab107:
	.byte	0                               ; 0x0
	.size	__hip_cuid_1c9ca27bccfab107, 1

	.ident	"AMD clang version 19.0.0git (https://github.com/RadeonOpenCompute/llvm-project roc-6.4.0 25133 c7fe45cf4b819c5991fe208aaa96edf142730f1d)"
	.section	".note.GNU-stack","",@progbits
	.addrsig
	.addrsig_sym __hip_cuid_1c9ca27bccfab107
	.amdgpu_metadata
---
amdhsa.kernels:
  - .args:
      - .actual_access:  read_only
        .address_space:  global
        .offset:         0
        .size:           8
        .value_kind:     global_buffer
      - .actual_access:  read_only
        .address_space:  global
        .offset:         8
        .size:           8
        .value_kind:     global_buffer
      - .actual_access:  read_only
        .address_space:  global
        .offset:         16
        .size:           8
        .value_kind:     global_buffer
      - .actual_access:  read_only
        .address_space:  global
        .offset:         24
        .size:           8
        .value_kind:     global_buffer
      - .actual_access:  read_only
        .address_space:  global
        .offset:         32
        .size:           8
        .value_kind:     global_buffer
      - .offset:         40
        .size:           8
        .value_kind:     by_value
      - .address_space:  global
        .offset:         48
        .size:           8
        .value_kind:     global_buffer
      - .address_space:  global
        .offset:         56
        .size:           8
        .value_kind:     global_buffer
      - .address_space:  global
        .offset:         64
        .size:           8
        .value_kind:     global_buffer
      - .address_space:  global
        .offset:         72
        .size:           8
        .value_kind:     global_buffer
      - .offset:         80
        .size:           4
        .value_kind:     by_value
      - .address_space:  global
        .offset:         88
        .size:           8
        .value_kind:     global_buffer
      - .address_space:  global
        .offset:         96
        .size:           8
        .value_kind:     global_buffer
    .group_segment_fixed_size: 15120
    .kernarg_segment_align: 8
    .kernarg_segment_size: 104
    .language:       OpenCL C
    .language_version:
      - 2
      - 0
    .max_flat_workgroup_size: 63
    .name:           bluestein_single_fwd_len945_dim1_dp_op_CI_CI
    .private_segment_fixed_size: 580
    .sgpr_count:     30
    .sgpr_spill_count: 0
    .symbol:         bluestein_single_fwd_len945_dim1_dp_op_CI_CI.kd
    .uniform_work_group_size: 1
    .uses_dynamic_stack: false
    .vgpr_count:     256
    .vgpr_spill_count: 148
    .wavefront_size: 32
    .workgroup_processor_mode: 1
amdhsa.target:   amdgcn-amd-amdhsa--gfx1100
amdhsa.version:
  - 1
  - 2
...

	.end_amdgpu_metadata
